;; amdgpu-corpus repo=ROCm/aiter kind=harvested arch=n/a opt=n/a

/root/src/amdgpu-assembly/repos/ROCm__aiter/hsa/gfx950/pa/pa_fp16_noquant_gqa8_1tg_4w_mtp_msk1.co:	file format elf64-amdgpu

Disassembly of section .text:

0000000000002200 <_ZN5aiter36pa_fp16_noquant_gqa8_1tg_4w_mtp_msk1E>:
	s_and_b32 s1, s1, 0xffff                                   // 000000002200: 8601FF01 0000FFFF
	s_load_dwordx2 s[8:9], s[0:1], 0x0                         // 000000002208: C0060200 00000000
	s_load_dwordx2 s[12:13], s[0:1], 0x10                      // 000000002210: C0060300 00000010
	s_load_dwordx2 s[16:17], s[0:1], 0x20                      // 000000002218: C0060400 00000020
	s_load_dwordx2 s[20:21], s[0:1], 0x30                      // 000000002220: C0060500 00000030
	s_load_dwordx2 s[24:25], s[0:1], 0x40                      // 000000002228: C0060600 00000040
	s_load_dwordx2 s[28:29], s[0:1], 0x50                      // 000000002230: C0060700 00000050
	s_load_dword s64, s[0:1], 0x80                             // 000000002238: C0021000 00000080
	s_load_dword s65, s[0:1], 0x90                             // 000000002240: C0021040 00000090
	s_load_dword s66, s[0:1], 0xa0                             // 000000002248: C0021080 000000A0
	s_load_dword s74, s[0:1], 0xb0                             // 000000002250: C0021280 000000B0
	s_load_dword s68, s[0:1], 0xc0                             // 000000002258: C0021100 000000C0
	s_load_dword s69, s[0:1], 0xd0                             // 000000002260: C0021140 000000D0
	s_load_dword s77, s[0:1], 0xe0                             // 000000002268: C0021340 000000E0
	s_load_dwordx2 s[80:81], s[0:1], 0xf0                      // 000000002270: C0061400 000000F0
	v_lshrrev_b32_e32 v1, 10, v0                               // 000000002278: 2002008A
	v_lshrrev_b32_e32 v2, 10, v1                               // 00000000227C: 2004028A
	v_and_b32_e32 v2, 0x3ff, v2                                // 000000002280: 260404FF 000003FF
	v_and_b32_e32 v1, 0x3ff, v1                                // 000000002288: 260202FF 000003FF
	v_and_b32_e32 v0, 0x3ff, v0                                // 000000002290: 260000FF 000003FF
	v_lshrrev_b32_e32 v3, 6, v0                                // 000000002298: 20060086
	v_and_b32_e32 v0, 63, v0                                   // 00000000229C: 260000BF
	s_mov_b32 s2, s2                                           // 0000000022A0: BE820002
	s_mov_b32 s3, s3                                           // 0000000022A4: BE830003
	s_mov_b32 s4, s4                                           // 0000000022A8: BE840004
	v_readfirstlane_b32 s7, v3                                 // 0000000022AC: 7E0E0503
	s_waitcnt lgkmcnt(0)                                       // 0000000022B0: BF8CC07F
	s_mul_i32 s67, 0x100, s77                                  // 0000000022B4: 92434DFF 00000100
	s_mul_i32 s76, 0x100, s77                                  // 0000000022BC: 924C4DFF 00000100
	s_mul_i32 s75, s66, s76                                    // 0000000022C4: 924B4C42
	s_mul_i32 s60, s3, 4                                       // 0000000022C8: 923C8403
	s_and_b32 s29, s29, 0xffff                                 // 0000000022CC: 861DFF1D 0000FFFF
	s_add_u32 s28, s60, s28                                    // 0000000022D4: 801C1C3C
	s_addc_u32 s29, 0, s29                                     // 0000000022D8: 821D1D80
	s_load_dword s72, s[28:29], 0x0                            // 0000000022DC: C002120E 00000000
	s_mul_i32 s60, s3, 4                                       // 0000000022E4: 923C8403
	s_and_b32 s81, s81, 0xffff                                 // 0000000022E8: 8651FF51 0000FFFF
	s_add_u32 s80, s60, s80                                    // 0000000022F0: 8050503C
	s_addc_u32 s81, 0, s81                                     // 0000000022F4: 82515180
	s_load_dword s84, s[80:81], 0x0                            // 0000000022F8: C0021528 00000000
	s_load_dword s85, s[80:81], 0x4                            // 000000002300: C0021568 00000004
	s_mov_b32 s10, s76                                         // 000000002308: BE8A004C
	s_mov_b32 s14, s67                                         // 00000000230C: BE8E0043
	s_mul_i32 s60, 4, s65                                      // 000000002310: 923C4184
	s_mov_b32 s26, s60                                         // 000000002314: BE9A003C
	s_mov_b32 s18, 0x80000000                                  // 000000002318: BE9200FF 80000000
	s_mov_b32 s22, 0x80000000                                  // 000000002320: BE9600FF 80000000
	s_mov_b32 s11, 0x20000                                     // 000000002328: BE8B00FF 00020000
	s_mov_b32 s15, 0x20000                                     // 000000002330: BE8F00FF 00020000
	s_mov_b32 s19, 0x20000                                     // 000000002338: BE9300FF 00020000
	s_mov_b32 s23, 0x20000                                     // 000000002340: BE9700FF 00020000
	s_mov_b32 s27, 0x20000                                     // 000000002348: BE9B00FF 00020000
	s_and_b32 s9, s9, 0xffff                                   // 000000002350: 8609FF09 0000FFFF
	s_and_b32 s13, s13, 0xffff                                 // 000000002358: 860DFF0D 0000FFFF
	s_and_b32 s17, s17, 0xffff                                 // 000000002360: 8611FF11 0000FFFF
	s_and_b32 s21, s21, 0xffff                                 // 000000002368: 8615FF15 0000FFFF
	s_and_b32 s25, s25, 0xffff                                 // 000000002370: 8619FF19 0000FFFF
	s_or_b32 s9, s9, 0x40000                                   // 000000002378: 8709FF09 00040000
	s_or_b32 s13, s13, 0x40000                                 // 000000002380: 870DFF0D 00040000
	s_or_b32 s17, s17, 0x40000                                 // 000000002388: 8711FF11 00040000
	s_or_b32 s21, s21, 0x40000                                 // 000000002390: 8715FF15 00040000
	s_or_b32 s25, s25, 0x40000                                 // 000000002398: 8719FF19 00040000
	v_accvgpr_write_b32 a255, 0                                // 0000000023A0: D3D940FF 18000080
	v_mov_b32_e32 v207, 0                                      // 0000000023A8: 7F9E0280
	s_mov_b32 s88, 0                                           // 0000000023AC: BED80080
	s_waitcnt lgkmcnt(0)                                       // 0000000023B0: BF8CC07F
	s_sub_u32 s86, s85, s84                                    // 0000000023B4: 80D65455
	s_mov_b32 s60, 2                                           // 0000000023B8: BEBC0082
	s_cmp_eq_i32 s60, s86                                      // 0000000023BC: BF00563C
	s_cbranch_scc1 label_0E73                                  // 0000000023C0: BF850E01
	s_mov_b32 s60, 3                                           // 0000000023C4: BEBC0083
	s_cmp_eq_i32 s60, s86                                      // 0000000023C8: BF00563C
	s_cbranch_scc1 label_1DE2                                  // 0000000023CC: BF851D6D
	s_mov_b32 s60, 4                                           // 0000000023D0: BEBC0084
	s_cmp_eq_i32 s60, s86                                      // 0000000023D4: BF00563C
	s_cbranch_scc1 label_1E44                                  // 0000000023D8: BF851DCC
	s_mul_i32 s60, s3, s65                                     // 0000000023DC: 923C4103
	s_mul_i32 s60, s60, 4                                      // 0000000023E0: 923C843C
	s_add_u32 s24, s60, s24                                    // 0000000023E4: 8018183C
	s_addc_u32 s25, 0, s25                                     // 0000000023E8: 82191980
	s_mov_b32 s56, 64                                          // 0000000023EC: BEB800C0
	s_waitcnt lgkmcnt(0)                                       // 0000000023F0: BF8CC07F
	s_add_u32 s73, s72, 15                                     // 0000000023F4: 80498F48
	s_lshr_b32 s73, s73, 4                                     // 0000000023F8: 8F498449
	s_mul_i32 s60, s73, 4                                      // 0000000023FC: 923C8449
	s_mov_b32 s26, s60                                         // 000000002400: BE9A003C
	v_and_b32_e32 v40, 3, v0                                   // 000000002404: 26500083
	v_cmp_eq_u32_e64 s[60:61], 0, v40                          // 000000002408: D0CA003C 00025080
	v_and_b32_e32 v39, 12, v0                                  // 000000002410: 264E008C
	v_add_u32_e32 v1, s7, v39                                  // 000000002414: 68024E07
	v_cndmask_b32_e64 v1, 0, v1, s[60:61]                      // 000000002418: D1000001 00F20280
	v_and_b32_e32 v40, 3, v0                                   // 000000002420: 26500083
	v_cmp_eq_u32_e64 s[60:61], 0, v40                          // 000000002424: D0CA003C 00025080
	v_lshrrev_b32_e32 v39, 5, v0                               // 00000000242C: 204E0085
	v_and_b32_e32 v40, 14, v0                                  // 000000002430: 2650008E
	v_add_u32_e32 v39, v40, v39                                // 000000002434: 684E4F28
	v_cndmask_b32_e64 v39, v39, 0, s[60:61]                    // 000000002438: D1000027 00F10127
	v_add_u32_e32 v1, v1, v39                                  // 000000002440: 68024F01
	v_lshlrev_b32_e32 v1, 2, v1                                // 000000002444: 24020282
	v_writelane_b32 v1, 56, 7                                  // 000000002448: D28A0001 00010EB8
	v_writelane_b32 v1, 56, 23                                 // 000000002450: D28A0001 00012EB8
	v_writelane_b32 v1, 60, 39                                 // 000000002458: D28A0001 00014EBC
	v_writelane_b32 v1, 60, 55                                 // 000000002460: D28A0001 00016EBC
	buffer_load_dword v17, v1, s[24:27], 0 offen               // 000000002468: E0501000 80061101
	v_add_u32_e32 v1, s56, v1                                  // 000000002470: 68020238
	buffer_load_dword v18, v1, s[24:27], 0 offen               // 000000002474: E0501000 80061201
	s_cmp_le_u32 s73, 32                                       // 00000000247C: BF0BA049
	s_cselect_b32 s56, 0, s56                                  // 000000002480: 85383880
	s_mul_i32 s61, s2, s67                                     // 000000002484: 923D4302
	s_mul_i32 s60, s84, s74                                    // 000000002488: 923C4A54
	s_add_u32 s60, s60, s61                                    // 00000000248C: 803C3D3C
	s_add_u32 s12, s60, s12                                    // 000000002490: 800C0C3C
	s_addc_u32 s13, 0, s13                                     // 000000002494: 820D0D80
	s_mul_i32 s60, s7, 0x420                                   // 000000002498: 923CFF07 00000420
	s_add_u32 m0, 0, s60                                       // 0000000024A0: 807C3C80
	s_mul_i32 s60, s7, 0x100                                   // 0000000024A4: 923CFF07 00000100
	v_lshlrev_b32_e32 v39, 2, v0                               // 0000000024AC: 244E0082
	v_add_u32_e64 v39, v39, s60                                // 0000000024B0: D1340027 00007927
	buffer_load_dword v39, s[12:15], 0 offen lds               // 0000000024B8: E0511000 80030027
	s_add_u32 m0, m0, 0x100                                    // 0000000024C0: 807CFF7C 00000100
	v_add_u32_e32 v39, 0x400, v39                              // 0000000024C8: 684E4EFF 00000400
	buffer_load_dword v39, s[12:15], 0 offen lds               // 0000000024D0: E0511000 80030027
	s_add_u32 m0, m0, 0x100                                    // 0000000024D8: 807CFF7C 00000100
	v_add_u32_e32 v39, 0x400, v39                              // 0000000024E0: 684E4EFF 00000400
	s_mul_i32 s60, s7, 0x420                                   // 0000000024E8: 923CFF07 00000420
	v_lshlrev_b32_e32 v39, 2, v0                               // 0000000024F0: 244E0082
	v_add_u32_e64 v39, v39, s60                                // 0000000024F4: D1340027 00007927
	v_mov_b32_e32 v40, 0                                       // 0000000024FC: 7E500280
	ds_write_b32 v39, v40 offset:512                           // 000000002500: D81A0200 00002827
	ds_write_b32 v39, v40 offset:768                           // 000000002508: D81A0300 00002827
	s_mul_i32 s61, s2, s76                                     // 000000002510: 923D4C02
	s_mul_i32 s60, s84, s75                                    // 000000002514: 923C4B54
	s_add_u32 s60, s60, s61                                    // 000000002518: 803C3D3C
	s_add_u32 s8, s60, s8                                      // 00000000251C: 8008083C
	s_addc_u32 s9, 0, s9                                       // 000000002520: 82090980
	s_mul_i32 s60, s7, 0x100                                   // 000000002524: 923CFF07 00000100
	v_lshlrev_b32_e32 v8, 2, v0                                // 00000000252C: 24100082
	v_add_u32_e64 v8, v8, s60                                  // 000000002530: D1340008 00007908
	s_mov_b32 s70, 0                                           // 000000002538: BEC60080
	s_and_b32 s71, s72, 0xffffff00                             // 00000000253C: 8647FF48 FFFFFF00
	v_mov_b32_e32 v54, s68                                     // 000000002544: 7E6C0244
	v_mov_b32_e32 v9, -1                                       // 000000002548: 7E1202C1
	s_mov_b32 s52, 0x7060302                                   // 00000000254C: BEB400FF 07060302
	s_mov_b32 s53, 0x400                                       // 000000002554: BEB500FF 00000400
	s_mov_b32 s54, 0x40100                                     // 00000000255C: BEB600FF 00040100
	s_mov_b32 s55, 0x4020100                                   // 000000002564: BEB700FF 04020100
	v_mov_b32_dpp v9, v9 row_shl:8 row_mask:0xf bank_mask:0xf bound_ctrl:1// 00000000256C: 7E1202FA FF090809
	s_mov_b32 s6, 0x3fb8aa3b                                   // 000000002574: BE8600FF 3FB8AA3B
	v_mov_b32_e32 v14, 0xff800000                              // 00000000257C: 7E1C02FF FF800000
	v_mov_b32_e32 v55, 0xff800000                              // 000000002584: 7E6E02FF FF800000
	v_mov_b32_e32 v51, 0                                       // 00000000258C: 7E660280
	v_mov_b32_e32 v43, 0                                       // 000000002590: 7E560280
	v_mov_b32_e32 v20, 0xffff0000                              // 000000002594: 7E2802FF FFFF0000
	v_mov_b32_e32 v21, 0x7fff0000                              // 00000000259C: 7E2A02FF 7FFF0000
	v_mov_b32_e32 v22, 0x7fff                                  // 0000000025A4: 7E2C02FF 00007FFF
	v_add_u32_e32 v1, s56, v1                                  // 0000000025AC: 68020238
	v_and_b32_e32 v10, 15, v0                                  // 0000000025B0: 2614008F
	v_lshlrev_b32_e32 v10, 2, v10                              // 0000000025B4: 24141482
	v_lshlrev_b32_e32 v11, 2, v0                               // 0000000025B8: 24160082
	s_mul_i32 s60, 0x100, s7                                   // 0000000025BC: 923C07FF 00000100
	v_add_u32_e32 v11, s60, v11                                // 0000000025C4: 6816163C
	v_lshrrev_b32_e32 v39, 4, v0                               // 0000000025C8: 204E0084
	v_lshlrev_b32_e32 v40, 6, v39                              // 0000000025CC: 24504E86
	v_and_b32_e32 v39, 15, v0                                  // 0000000025D0: 264E008F
	v_lshlrev_b32_e32 v39, 1, v39                              // 0000000025D4: 244E4E81
	v_add_u32_e32 v40, v39, v40                                // 0000000025D8: 68505127
	v_lshlrev_b32_e32 v12, 2, v40                              // 0000000025DC: 24185082
	v_lshlrev_b32_e32 v39, 3, v0                               // 0000000025E0: 244E0083
	s_mul_i32 s60, 0x200, s7                                   // 0000000025E4: 923C07FF 00000200
	v_add_u32_e64 v13, v39, s60                                // 0000000025EC: D134000D 00007927
	v_lshlrev_b32_e32 v6, 4, v0                                // 0000000025F4: 240C0084
	s_mul_i32 s60, s2, s69                                     // 0000000025F8: 923C4502
	s_add_u32 s16, s60, s16                                    // 0000000025FC: 8010103C
	s_addc_u32 s17, 0, s17                                     // 000000002600: 82111180
	v_and_b32_e32 v39, 15, v0                                  // 000000002604: 264E008F
	v_lshlrev_b32_e32 v7, 4, v39                               // 000000002608: 240E4E84
	v_and_b32_e32 v39, 31, v0                                  // 00000000260C: 264E009F
	v_lshrrev_b32_e32 v39, 4, v39                              // 000000002610: 204E4E84
	v_mul_i32_i24_e32 v39, 0x800, v39                          // 000000002614: 0C4E4EFF 00000800
	v_add_u32_e32 v7, v39, v7                                  // 00000000261C: 680E0F27
	s_mul_i32 s61, s2, s69                                     // 000000002620: 923D4502
	s_mul_i32 s60, s7, 0x100                                   // 000000002624: 923CFF07 00000100
	s_add_u32 s60, s60, s61                                    // 00000000262C: 803C3D3C
	s_add_u32 s20, s60, s20                                    // 000000002630: 8014143C
	s_addc_u32 s21, 0, s21                                     // 000000002634: 82151580
	s_waitcnt vmcnt(2)                                         // 000000002638: BF8C0F72
	v_mul_u32_u24_dpp v39, v17, v54 row_newbcast:0 row_mask:0xf bank_mask:0xf// 00000000263C: 104E6CFA FF015011
	v_mul_u32_u24_dpp v40, v17, v54 row_newbcast:4 row_mask:0xf bank_mask:0xf// 000000002644: 10506CFA FF015411
	v_mul_u32_u24_dpp v41, v17, v54 row_newbcast:8 row_mask:0xf bank_mask:0xf// 00000000264C: 10526CFA FF015811
	v_mul_u32_u24_dpp v42, v17, v54 row_newbcast:12 row_mask:0xf bank_mask:0xf// 000000002654: 10546CFA FF015C11
	v_add_u32_e32 v23, v39, v6                                 // 00000000265C: 682E0D27
	v_add_u32_e32 v24, v40, v6                                 // 000000002660: 68300D28
	v_add_u32_e32 v25, v41, v6                                 // 000000002664: 68320D29
	v_add_u32_e32 v26, v42, v6                                 // 000000002668: 68340D2A
	v_mul_u32_u24_dpp v39, v17, v54 row_newbcast:1 row_mask:0xf bank_mask:0xf// 00000000266C: 104E6CFA FF015111
	v_mul_u32_u24_dpp v40, v17, v54 row_newbcast:2 row_mask:0xf bank_mask:0xf// 000000002674: 10506CFA FF015211
	v_mul_u32_u24_dpp v41, v17, v54 row_newbcast:5 row_mask:0xf bank_mask:0xf// 00000000267C: 10526CFA FF015511
	v_mul_u32_u24_dpp v42, v17, v54 row_newbcast:6 row_mask:0xf bank_mask:0xf// 000000002684: 10546CFA FF015611
	v_add_u32_e32 v192, v39, v7                                // 00000000268C: 69800F27
	v_add_u32_e32 v193, v40, v7                                // 000000002690: 69820F28
	v_add_u32_e32 v194, v41, v7                                // 000000002694: 69840F29
	v_add_u32_e32 v195, v42, v7                                // 000000002698: 69860F2A
	v_mul_u32_u24_dpp v39, v17, v54 row_newbcast:9 row_mask:0xf bank_mask:0xf// 00000000269C: 104E6CFA FF015911
	v_mul_u32_u24_dpp v40, v17, v54 row_newbcast:10 row_mask:0xf bank_mask:0xf// 0000000026A4: 10506CFA FF015A11
	v_mul_u32_u24_dpp v41, v17, v54 row_newbcast:13 row_mask:0xf bank_mask:0xf// 0000000026AC: 10526CFA FF015D11
	v_mul_u32_u24_dpp v42, v17, v54 row_newbcast:7 row_mask:0xf bank_mask:0xf// 0000000026B4: 10546CFA FF015711
	v_add_u32_e32 v196, v39, v7                                // 0000000026BC: 69880F27
	v_add_u32_e32 v197, v40, v7                                // 0000000026C0: 698A0F28
	v_add_u32_e32 v198, v41, v7                                // 0000000026C4: 698C0F29
	v_add_u32_e32 v199, v42, v7                                // 0000000026C8: 698E0F2A
	buffer_load_dwordx4 a[0:3], v23, s[16:19], 0 offen         // 0000000026CC: E05C1000 80840017
	buffer_load_dwordx4 a[4:7], v23, s[16:19], 0 offen offset:1024// 0000000026D4: E05C1400 80840417
	buffer_load_dwordx4 a[8:11], v23, s[16:19], 0 offen offset:2048// 0000000026DC: E05C1800 80840817
	buffer_load_dwordx4 a[12:15], v23, s[16:19], 0 offen offset:3072// 0000000026E4: E05C1C00 80840C17
	buffer_load_dwordx4 a[16:19], v24, s[16:19], 0 offen       // 0000000026EC: E05C1000 80841018
	buffer_load_dwordx4 a[20:23], v24, s[16:19], 0 offen offset:1024// 0000000026F4: E05C1400 80841418
	buffer_load_dwordx4 a[24:27], v24, s[16:19], 0 offen offset:2048// 0000000026FC: E05C1800 80841818
	buffer_load_dwordx4 a[28:31], v24, s[16:19], 0 offen offset:3072// 000000002704: E05C1C00 80841C18
	buffer_load_dwordx4 a[32:35], v25, s[16:19], 0 offen       // 00000000270C: E05C1000 80842019
	buffer_load_dwordx4 a[36:39], v25, s[16:19], 0 offen offset:1024// 000000002714: E05C1400 80842419
	buffer_load_dwordx4 a[40:43], v25, s[16:19], 0 offen offset:2048// 00000000271C: E05C1800 80842819
	buffer_load_dwordx4 a[44:47], v25, s[16:19], 0 offen offset:3072// 000000002724: E05C1C00 80842C19
	buffer_load_dwordx4 a[48:51], v26, s[16:19], 0 offen       // 00000000272C: E05C1000 8084301A
	buffer_load_dwordx4 a[52:55], v26, s[16:19], 0 offen offset:1024// 000000002734: E05C1400 8084341A
	buffer_load_dwordx4 a[56:59], v26, s[16:19], 0 offen offset:2048// 00000000273C: E05C1800 8084381A
	buffer_load_dwordx4 a[60:63], v26, s[16:19], 0 offen offset:3072// 000000002744: E05C1C00 80843C1A
	buffer_load_dwordx4 a[128:131], v192, s[20:23], 0 offen    // 00000000274C: E05C1000 808580C0
	buffer_load_dwordx4 a[132:135], v193, s[20:23], 0 offen    // 000000002754: E05C1000 808584C1
	buffer_load_dwordx4 a[136:139], v194, s[20:23], 0 offen    // 00000000275C: E05C1000 808588C2
	buffer_load_dwordx4 a[140:143], v195, s[20:23], 0 offen    // 000000002764: E05C1000 80858CC3
	buffer_load_dwordx4 a[144:147], v196, s[20:23], 0 offen    // 00000000276C: E05C1000 808590C4
	buffer_load_dwordx4 a[148:151], v197, s[20:23], 0 offen    // 000000002774: E05C1000 808594C5
	buffer_load_dwordx4 a[152:155], v198, s[20:23], 0 offen    // 00000000277C: E05C1000 808598C6
	buffer_load_dwordx4 a[156:159], v199, s[20:23], 0 offen    // 000000002784: E05C1000 80859CC7
	buffer_load_dwordx4 a[160:163], v192, s[20:23], 0 offen offset:1024// 00000000278C: E05C1400 8085A0C0
	buffer_load_dwordx4 a[164:167], v193, s[20:23], 0 offen offset:1024// 000000002794: E05C1400 8085A4C1
	buffer_load_dwordx4 a[168:171], v194, s[20:23], 0 offen offset:1024// 00000000279C: E05C1400 8085A8C2
	buffer_load_dwordx4 a[172:175], v195, s[20:23], 0 offen offset:1024// 0000000027A4: E05C1400 8085ACC3
	buffer_load_dwordx4 a[176:179], v196, s[20:23], 0 offen offset:1024// 0000000027AC: E05C1400 8085B0C4
	buffer_load_dwordx4 a[180:183], v197, s[20:23], 0 offen offset:1024// 0000000027B4: E05C1400 8085B4C5
	buffer_load_dwordx4 a[184:187], v198, s[20:23], 0 offen offset:1024// 0000000027BC: E05C1400 8085B8C6
	buffer_load_dwordx4 a[188:191], v199, s[20:23], 0 offen offset:1024// 0000000027C4: E05C1400 8085BCC7
	v_lshrrev_b32_e32 v39, 4, v0                               // 0000000027CC: 204E0084
	v_lshlrev_b32_e32 v40, 2, v39                              // 0000000027D0: 24504E82
	v_and_b32_e32 v39, 15, v0                                  // 0000000027D4: 264E008F
	v_lshrrev_b32_e32 v41, 2, v39                              // 0000000027D8: 20524E82
	v_lshlrev_b32_e32 v41, 6, v41                              // 0000000027DC: 24525286
	v_add_u32_e32 v40, v41, v40                                // 0000000027E0: 68505129
	v_and_b32_e32 v39, 3, v0                                   // 0000000027E4: 264E0083
	v_mul_i32_i24_e32 v41, 0x108, v39                          // 0000000027E8: 0C524EFF 00000108
	v_add_u32_e32 v40, v41, v40                                // 0000000027F0: 68505129
	v_lshlrev_b32_e32 v4, 2, v40                               // 0000000027F4: 24085082
	s_waitcnt vmcnt(32) lgkmcnt(0)                             // 0000000027F8: BF8C8070
	s_barrier                                                  // 0000000027FC: BF8A0000
	ds_read_b128 v[80:83], v4                                  // 000000002800: D9FE0000 50000004
	ds_read_b128 v[84:87], v4 offset:64                        // 000000002808: D9FE0040 54000004
	ds_read_b128 v[88:91], v4 offset:128                       // 000000002810: D9FE0080 58000004
	ds_read_b128 v[92:95], v4 offset:192                       // 000000002818: D9FE00C0 5C000004
	v_mov_b32_e32 v176, 0                                      // 000000002820: 7F600280
	v_mov_b32_e32 v177, 0                                      // 000000002824: 7F620280
	v_mov_b32_e32 v178, 0                                      // 000000002828: 7F640280
	v_mov_b32_e32 v179, 0                                      // 00000000282C: 7F660280
	v_mov_b32_e32 v180, 0                                      // 000000002830: 7F680280
	v_mov_b32_e32 v181, 0                                      // 000000002834: 7F6A0280
	v_mov_b32_e32 v182, 0                                      // 000000002838: 7F6C0280
	v_mov_b32_e32 v183, 0                                      // 00000000283C: 7F6E0280
	s_waitcnt vmcnt(16) lgkmcnt(0)                             // 000000002840: BF8C4070
	s_barrier                                                  // 000000002844: BF8A0000
	v_mul_u32_u24_dpp v39, v18, v54 row_newbcast:0 row_mask:0xf bank_mask:0xf// 000000002848: 104E6CFA FF015012
	v_mul_u32_u24_dpp v40, v18, v54 row_newbcast:4 row_mask:0xf bank_mask:0xf// 000000002850: 10506CFA FF015412
	v_mul_u32_u24_dpp v41, v18, v54 row_newbcast:8 row_mask:0xf bank_mask:0xf// 000000002858: 10526CFA FF015812
	v_mul_u32_u24_dpp v42, v18, v54 row_newbcast:12 row_mask:0xf bank_mask:0xf// 000000002860: 10546CFA FF015C12
	v_add_u32_e32 v27, v39, v6                                 // 000000002868: 68360D27
	v_add_u32_e32 v28, v40, v6                                 // 00000000286C: 68380D28
	v_add_u32_e32 v29, v41, v6                                 // 000000002870: 683A0D29
	v_add_u32_e32 v30, v42, v6                                 // 000000002874: 683C0D2A
	v_mul_u32_u24_dpp v39, v18, v54 row_newbcast:1 row_mask:0xf bank_mask:0xf// 000000002878: 104E6CFA FF015112
	v_mul_u32_u24_dpp v40, v18, v54 row_newbcast:2 row_mask:0xf bank_mask:0xf// 000000002880: 10506CFA FF015212
	v_mul_u32_u24_dpp v41, v18, v54 row_newbcast:5 row_mask:0xf bank_mask:0xf// 000000002888: 10526CFA FF015512
	v_mul_u32_u24_dpp v42, v18, v54 row_newbcast:6 row_mask:0xf bank_mask:0xf// 000000002890: 10546CFA FF015612
	v_add_u32_e32 v200, v39, v7                                // 000000002898: 69900F27
	v_add_u32_e32 v201, v40, v7                                // 00000000289C: 69920F28
	v_add_u32_e32 v202, v41, v7                                // 0000000028A0: 69940F29
	v_add_u32_e32 v203, v42, v7                                // 0000000028A4: 69960F2A
	v_mul_u32_u24_dpp v39, v18, v54 row_newbcast:9 row_mask:0xf bank_mask:0xf// 0000000028A8: 104E6CFA FF015912
	v_mul_u32_u24_dpp v40, v18, v54 row_newbcast:10 row_mask:0xf bank_mask:0xf// 0000000028B0: 10506CFA FF015A12
	v_mul_u32_u24_dpp v41, v18, v54 row_newbcast:13 row_mask:0xf bank_mask:0xf// 0000000028B8: 10526CFA FF015D12
	v_mul_u32_u24_dpp v42, v18, v54 row_newbcast:7 row_mask:0xf bank_mask:0xf// 0000000028C0: 10546CFA FF015712
	v_add_u32_e32 v204, v39, v7                                // 0000000028C8: 69980F27
	v_add_u32_e32 v205, v40, v7                                // 0000000028CC: 699A0F28
	v_add_u32_e32 v206, v41, v7                                // 0000000028D0: 699C0F29
	v_add_u32_e32 v207, v42, v7                                // 0000000028D4: 699E0F2A
	s_cmp_lt_u32 s73, 16                                       // 0000000028D8: BF0A9049
	s_cbranch_scc1 label_0A67                                  // 0000000028DC: BF8508AE
	s_cmp_lt_i32 s7, 2                                         // 0000000028E0: BF048207
	s_cbranch_scc0 label_0552                                  // 0000000028E4: BF840398

00000000000028e8 <label_01BA>:
	s_waitcnt vmcnt(16) lgkmcnt(0)                             // 0000000028E8: BF8C4070
	v_mfma_f32_16x16x16_f16 v[112:115], a[0:1], v[80:81], 0    // 0000000028EC: D3CD0070 0A02A100
	v_mfma_f32_16x16x16_f16 v[112:115], a[2:3], v[82:83], v[112:115]// 0000000028F4: D3CD0070 0DC2A502
	buffer_load_dwordx4 a[64:67], v27, s[16:19], 0 offen       // 0000000028FC: E05C1000 8084401B
	v_mfma_f32_16x16x16_f16 v[112:115], a[4:5], v[84:85], v[112:115]// 000000002904: D3CD0070 0DC2A904
	v_mfma_f32_16x16x16_f16 v[112:115], a[6:7], v[86:87], v[112:115]// 00000000290C: D3CD0070 0DC2AD06
	buffer_load_dword v17, v1, s[24:27], 0 offen               // 000000002914: E0501000 80061101
	v_mfma_f32_16x16x16_f16 v[112:115], a[8:9], v[88:89], v[112:115]// 00000000291C: D3CD0070 0DC2B108
	v_mfma_f32_16x16x16_f16 v[112:115], a[10:11], v[90:91], v[112:115]// 000000002924: D3CD0070 0DC2B50A
	buffer_load_dwordx4 a[68:71], v27, s[16:19], 0 offen offset:1024// 00000000292C: E05C1400 8084441B
	v_mfma_f32_16x16x16_f16 v[112:115], a[12:13], v[92:93], v[112:115]// 000000002934: D3CD0070 0DC2B90C
	v_mfma_f32_16x16x16_f16 v[112:115], a[14:15], v[94:95], v[112:115]// 00000000293C: D3CD0070 0DC2BD0E
	v_mfma_f32_16x16x16_f16 v[116:119], a[16:17], v[80:81], 0  // 000000002944: D3CD0074 0A02A110
	v_mfma_f32_16x16x16_f16 v[116:119], a[18:19], v[82:83], v[116:119]// 00000000294C: D3CD0074 0DD2A512
	buffer_load_dwordx4 a[72:75], v27, s[16:19], 0 offen offset:2048// 000000002954: E05C1800 8084481B
	v_mfma_f32_16x16x16_f16 v[116:119], a[20:21], v[84:85], v[116:119]// 00000000295C: D3CD0074 0DD2A914
	v_mfma_f32_16x16x16_f16 v[116:119], a[22:23], v[86:87], v[116:119]// 000000002964: D3CD0074 0DD2AD16
	v_mfma_f32_16x16x16_f16 v[116:119], a[24:25], v[88:89], v[116:119]// 00000000296C: D3CD0074 0DD2B118
	v_mfma_f32_16x16x16_f16 v[116:119], a[26:27], v[90:91], v[116:119]// 000000002974: D3CD0074 0DD2B51A
	buffer_load_dwordx4 a[76:79], v27, s[16:19], 0 offen offset:3072// 00000000297C: E05C1C00 80844C1B
	v_mfma_f32_16x16x16_f16 v[116:119], a[28:29], v[92:93], v[116:119]// 000000002984: D3CD0074 0DD2B91C
	v_mfma_f32_16x16x16_f16 v[116:119], a[30:31], v[94:95], v[116:119]// 00000000298C: D3CD0074 0DD2BD1E
	v_mfma_f32_16x16x16_f16 v[120:123], a[32:33], v[80:81], 0  // 000000002994: D3CD0078 0A02A120
	v_mfma_f32_16x16x16_f16 v[120:123], a[34:35], v[82:83], v[120:123]// 00000000299C: D3CD0078 0DE2A522
	buffer_load_dwordx4 a[80:83], v28, s[16:19], 0 offen       // 0000000029A4: E05C1000 8084501C
	v_mfma_f32_16x16x16_f16 v[120:123], a[36:37], v[84:85], v[120:123]// 0000000029AC: D3CD0078 0DE2A924
	v_mfma_f32_16x16x16_f16 v[120:123], a[38:39], v[86:87], v[120:123]// 0000000029B4: D3CD0078 0DE2AD26
	v_mfma_f32_16x16x16_f16 v[120:123], a[40:41], v[88:89], v[120:123]// 0000000029BC: D3CD0078 0DE2B128
	v_mfma_f32_16x16x16_f16 v[120:123], a[42:43], v[90:91], v[120:123]// 0000000029C4: D3CD0078 0DE2B52A
	buffer_load_dwordx4 a[84:87], v28, s[16:19], 0 offen offset:1024// 0000000029CC: E05C1400 8084541C
	v_mfma_f32_16x16x16_f16 v[120:123], a[44:45], v[92:93], v[120:123]// 0000000029D4: D3CD0078 0DE2B92C
	v_mfma_f32_16x16x16_f16 v[120:123], a[46:47], v[94:95], v[120:123]// 0000000029DC: D3CD0078 0DE2BD2E
	v_mfma_f32_16x16x16_f16 v[124:127], a[48:49], v[80:81], 0  // 0000000029E4: D3CD007C 0A02A130
	v_mfma_f32_16x16x16_f16 v[124:127], a[50:51], v[82:83], v[124:127]// 0000000029EC: D3CD007C 0DF2A532
	buffer_load_dwordx4 a[88:91], v28, s[16:19], 0 offen offset:2048// 0000000029F4: E05C1800 8084581C
	v_mfma_f32_16x16x16_f16 v[124:127], a[52:53], v[84:85], v[124:127]// 0000000029FC: D3CD007C 0DF2A934
	v_mfma_f32_16x16x16_f16 v[124:127], a[54:55], v[86:87], v[124:127]// 000000002A04: D3CD007C 0DF2AD36
	v_mfma_f32_16x16x16_f16 v[124:127], a[56:57], v[88:89], v[124:127]// 000000002A0C: D3CD007C 0DF2B138
	v_mfma_f32_16x16x16_f16 v[124:127], a[58:59], v[90:91], v[124:127]// 000000002A14: D3CD007C 0DF2B53A
	buffer_load_dwordx4 a[92:95], v28, s[16:19], 0 offen offset:3072// 000000002A1C: E05C1C00 80845C1C
	v_mfma_f32_16x16x16_f16 v[124:127], a[60:61], v[92:93], v[124:127]// 000000002A24: D3CD007C 0DF2B93C
	v_mfma_f32_16x16x16_f16 v[124:127], a[62:63], v[94:95], v[124:127]// 000000002A2C: D3CD007C 0DF2BD3E
	buffer_load_dwordx4 a[96:99], v29, s[16:19], 0 offen       // 000000002A34: E05C1000 8084601D
	s_nop 8                                                    // 000000002A3C: BF800008
	v_or_b32_dpp v112, v120, v112 row_shr:8 row_mask:0xf bank_mask:0xf bound_ctrl:1// 000000002A40: 28E0E0FA FF091878
	v_or_b32_dpp v113, v121, v113 row_shr:8 row_mask:0xf bank_mask:0xf bound_ctrl:1// 000000002A48: 28E2E2FA FF091879
	v_or_b32_dpp v114, v122, v114 row_shr:8 row_mask:0xf bank_mask:0xf bound_ctrl:1// 000000002A50: 28E4E4FA FF09187A
	v_or_b32_dpp v115, v123, v115 row_shr:8 row_mask:0xf bank_mask:0xf bound_ctrl:1// 000000002A58: 28E6E6FA FF09187B
	v_or_b32_dpp v116, v124, v116 row_shr:8 row_mask:0xf bank_mask:0xf bound_ctrl:1// 000000002A60: 28E8E8FA FF09187C
	v_or_b32_dpp v117, v125, v117 row_shr:8 row_mask:0xf bank_mask:0xf bound_ctrl:1// 000000002A68: 28EAEAFA FF09187D
	v_or_b32_dpp v118, v126, v118 row_shr:8 row_mask:0xf bank_mask:0xf bound_ctrl:1// 000000002A70: 28ECECFA FF09187E
	v_or_b32_dpp v119, v127, v119 row_shr:8 row_mask:0xf bank_mask:0xf bound_ctrl:1// 000000002A78: 28EEEEFA FF09187F
	buffer_load_dwordx4 a[100:103], v29, s[16:19], 0 offen offset:1024// 000000002A80: E05C1400 8084641D
	v_mov_b32_e32 v50, v112                                    // 000000002A88: 7E640370
	v_max3_f32 v50, v112, v113, v50                            // 000000002A8C: D1D30032 04CAE370
	v_max3_f32 v50, v114, v115, v50                            // 000000002A94: D1D30032 04CAE772
	v_max3_f32 v50, v116, v117, v50                            // 000000002A9C: D1D30032 04CAEB74
	v_max3_f32 v50, v118, v119, v50                            // 000000002AA4: D1D30032 04CAEF76
	ds_write_b32 v11, v50                                      // 000000002AAC: D81A0000 0000320B
	buffer_load_dwordx4 a[104:107], v29, s[16:19], 0 offen offset:2048// 000000002AB4: E05C1800 8084681D
	s_waitcnt lgkmcnt(0)                                       // 000000002ABC: BF8CC07F
	s_barrier                                                  // 000000002AC0: BF8A0000
	ds_read_b32 v64, v10                                       // 000000002AC4: D86C0000 4000000A
	buffer_load_dwordx4 a[108:111], v29, s[16:19], 0 offen offset:3072// 000000002ACC: E05C1C00 80846C1D
	ds_read_b32 v65, v10 offset:64                             // 000000002AD4: D86C0040 4100000A
	ds_read_b32 v66, v10 offset:128                            // 000000002ADC: D86C0080 4200000A
	ds_read_b32 v67, v10 offset:192                            // 000000002AE4: D86C00C0 4300000A
	ds_read_b32 v68, v10 offset:256                            // 000000002AEC: D86C0100 4400000A
	ds_read_b32 v69, v10 offset:320                            // 000000002AF4: D86C0140 4500000A
	ds_read_b32 v70, v10 offset:384                            // 000000002AFC: D86C0180 4600000A
	ds_read_b32 v71, v10 offset:448                            // 000000002B04: D86C01C0 4700000A
	ds_read_b32 v72, v10 offset:512                            // 000000002B0C: D86C0200 4800000A
	buffer_load_dwordx4 a[112:115], v30, s[16:19], 0 offen     // 000000002B14: E05C1000 8084701E
	ds_read_b32 v73, v10 offset:576                            // 000000002B1C: D86C0240 4900000A
	ds_read_b32 v74, v10 offset:640                            // 000000002B24: D86C0280 4A00000A
	ds_read_b32 v75, v10 offset:704                            // 000000002B2C: D86C02C0 4B00000A
	ds_read_b32 v76, v10 offset:768                            // 000000002B34: D86C0300 4C00000A
	ds_read_b32 v77, v10 offset:832                            // 000000002B3C: D86C0340 4D00000A
	ds_read_b32 v78, v10 offset:896                            // 000000002B44: D86C0380 4E00000A
	ds_read_b32 v79, v10 offset:960                            // 000000002B4C: D86C03C0 4F00000A
	buffer_load_dwordx4 a[116:119], v30, s[16:19], 0 offen offset:1024// 000000002B54: E05C1400 8084741E
	buffer_load_dwordx4 a[120:123], v30, s[16:19], 0 offen offset:2048// 000000002B5C: E05C1800 8084781E
	s_waitcnt lgkmcnt(0)                                       // 000000002B64: BF8CC07F
	v_max3_f32 v50, v64, v65, v50                              // 000000002B68: D1D30032 04CA8340
	v_max3_f32 v50, v66, v67, v50                              // 000000002B70: D1D30032 04CA8742
	v_max3_f32 v50, v68, v69, v50                              // 000000002B78: D1D30032 04CA8B44
	v_max3_f32 v50, v70, v71, v50                              // 000000002B80: D1D30032 04CA8F46
	v_max3_f32 v50, v72, v73, v50                              // 000000002B88: D1D30032 04CA9348
	v_max3_f32 v50, v74, v75, v50                              // 000000002B90: D1D30032 04CA974A
	v_max3_f32 v50, v76, v77, v50                              // 000000002B98: D1D30032 04CA9B4C
	v_max3_f32 v50, v78, v79, v50                              // 000000002BA0: D1D30032 04CA9F4E
	buffer_load_dwordx4 a[124:127], v30, s[16:19], 0 offen offset:3072// 000000002BA8: E05C1C00 80847C1E
	v_cmp_eq_u32_e64 s[40:41], v55, v14                        // 000000002BB0: D0CA0028 00021D37
	s_nop 1                                                    // 000000002BB8: BF800001
	v_mov_b32_dpp v39, v50 row_ror:8 row_mask:0xf bank_mask:0xf// 000000002BBC: 7E4E02FA FF012832
	v_max_f32_e32 v50, v50, v39                                // 000000002BC4: 16644F32
	v_max_f32_e32 v16, v50, v14                                // 000000002BC8: 16201D32
	v_sub_f32_e32 v51, v14, v16                                // 000000002BCC: 0466210E
	v_cndmask_b32_e64 v51, v51, 0, s[40:41]                    // 000000002BD0: D1000033 00A10133
	v_mov_b32_e32 v14, v16                                     // 000000002BD8: 7E1C0310
	v_mul_f32_e32 v53, s64, v16                                // 000000002BDC: 0A6A2040
	v_mul_f32_e32 v51, s64, v51                                // 000000002BE0: 0A666640
	v_exp_f32_e32 v51, v51                                     // 000000002BE4: 7E664133
	buffer_load_dwordx4 a[192:195], v200, s[20:23], 0 offen    // 000000002BE8: E05C1000 8085C0C8
	v_fma_f32 v112, v112, s64, -v53                            // 000000002BF0: D1CB0070 84D48170
	v_fma_f32 v113, v113, s64, -v53                            // 000000002BF8: D1CB0071 84D48171
	v_fma_f32 v114, v114, s64, -v53                            // 000000002C00: D1CB0072 84D48172
	v_fma_f32 v115, v115, s64, -v53                            // 000000002C08: D1CB0073 84D48173
	v_fma_f32 v116, v116, s64, -v53                            // 000000002C10: D1CB0074 84D48174
	v_fma_f32 v117, v117, s64, -v53                            // 000000002C18: D1CB0075 84D48175
	v_fma_f32 v118, v118, s64, -v53                            // 000000002C20: D1CB0076 84D48176
	v_fma_f32 v119, v119, s64, -v53                            // 000000002C28: D1CB0077 84D48177
	v_exp_f32_e32 v112, v112                                   // 000000002C30: 7EE04170
	v_exp_f32_e32 v113, v113                                   // 000000002C34: 7EE24171
	v_exp_f32_e32 v114, v114                                   // 000000002C38: 7EE44172
	v_exp_f32_e32 v115, v115                                   // 000000002C3C: 7EE64173
	v_exp_f32_e32 v116, v116                                   // 000000002C40: 7EE84174
	v_exp_f32_e32 v117, v117                                   // 000000002C44: 7EEA4175
	v_exp_f32_e32 v118, v118                                   // 000000002C48: 7EEC4176
	v_exp_f32_e32 v119, v119                                   // 000000002C4C: 7EEE4177
	buffer_load_dwordx4 a[196:199], v201, s[20:23], 0 offen    // 000000002C50: E05C1000 8085C4C9
	v_mul_f32_e32 v43, v51, v43                                // 000000002C58: 0A565733
	v_mov_b32_e32 v45, v112                                    // 000000002C5C: 7E5A0370
	v_add_f32_e32 v45, v113, v45                               // 000000002C60: 025A5B71
	v_add_f32_e32 v45, v114, v45                               // 000000002C64: 025A5B72
	v_add_f32_e32 v45, v115, v45                               // 000000002C68: 025A5B73
	v_add_f32_e32 v45, v116, v45                               // 000000002C6C: 025A5B74
	v_add_f32_e32 v45, v117, v45                               // 000000002C70: 025A5B75
	v_add_f32_e32 v45, v118, v45                               // 000000002C74: 025A5B76
	v_add_f32_e32 v45, v119, v45                               // 000000002C78: 025A5B77
	v_add_f32_e32 v43, v45, v43                                // 000000002C7C: 0256572D
	buffer_load_dwordx4 a[200:203], v202, s[20:23], 0 offen    // 000000002C80: E05C1000 8085C8CA
	v_cvt_pkrtz_f16_f32 v39, v112, v113                        // 000000002C88: D2960027 0002E370
	v_mov_b32_e32 v112, v39                                    // 000000002C90: 7EE00327
	v_cvt_pkrtz_f16_f32 v39, v114, v115                        // 000000002C94: D2960027 0002E772
	v_mov_b32_e32 v113, v39                                    // 000000002C9C: 7EE20327
	v_cvt_pkrtz_f16_f32 v39, v116, v117                        // 000000002CA0: D2960027 0002EB74
	v_mov_b32_e32 v114, v39                                    // 000000002CA8: 7EE40327
	v_cvt_pkrtz_f16_f32 v39, v118, v119                        // 000000002CAC: D2960027 0002EF76
	v_mov_b32_e32 v115, v39                                    // 000000002CB4: 7EE60327
	buffer_load_dwordx4 a[204:207], v203, s[20:23], 0 offen    // 000000002CB8: E05C1000 8085CCCB
	buffer_load_dwordx4 a[208:211], v204, s[20:23], 0 offen    // 000000002CC0: E05C1000 8085D0CC
	ds_write_b64 v13, v[112:113] offset:4096                   // 000000002CC8: D89A1000 0000700D
	ds_write_b64 v13, v[114:115] offset:6144                   // 000000002CD0: D89A1800 0000720D
	buffer_load_dwordx4 a[212:215], v205, s[20:23], 0 offen    // 000000002CD8: E05C1000 8085D4CD
	s_waitcnt lgkmcnt(0)                                       // 000000002CE0: BF8CC07F
	s_barrier                                                  // 000000002CE4: BF8A0000
	ds_read_b64 v[112:113], v12 offset:4096                    // 000000002CE8: D8EC1000 7000000C
	ds_read_b64 v[114:115], v12 offset:4224                    // 000000002CF0: D8EC1080 7200000C
	ds_read_b64 v[116:117], v12 offset:5120                    // 000000002CF8: D8EC1400 7400000C
	ds_read_b64 v[118:119], v12 offset:5248                    // 000000002D00: D8EC1480 7600000C
	ds_read_b64 v[120:121], v12 offset:6144                    // 000000002D08: D8EC1800 7800000C
	ds_read_b64 v[122:123], v12 offset:6272                    // 000000002D10: D8EC1880 7A00000C
	ds_read_b64 v[124:125], v12 offset:7168                    // 000000002D18: D8EC1C00 7C00000C
	ds_read_b64 v[126:127], v12 offset:7296                    // 000000002D20: D8EC1C80 7E00000C
	buffer_load_dwordx4 a[216:219], v206, s[20:23], 0 offen    // 000000002D28: E05C1000 8085D8CE
	s_waitcnt lgkmcnt(0)                                       // 000000002D30: BF8CC07F
	v_mov_b32_dpp v128, v112 row_shl:8 row_mask:0xf bank_mask:0xf bound_ctrl:1// 000000002D34: 7F0002FA FF090870
	v_and_b32_e32 v112, v112, v9                               // 000000002D3C: 26E01370
	v_mov_b32_dpp v129, v113 row_shl:8 row_mask:0xf bank_mask:0xf bound_ctrl:1// 000000002D40: 7F0202FA FF090871
	v_and_b32_e32 v113, v113, v9                               // 000000002D48: 26E21371
	v_mov_b32_dpp v130, v114 row_shl:8 row_mask:0xf bank_mask:0xf bound_ctrl:1// 000000002D4C: 7F0402FA FF090872
	v_and_b32_e32 v114, v114, v9                               // 000000002D54: 26E41372
	v_mov_b32_dpp v131, v115 row_shl:8 row_mask:0xf bank_mask:0xf bound_ctrl:1// 000000002D58: 7F0602FA FF090873
	v_and_b32_e32 v115, v115, v9                               // 000000002D60: 26E61373
	v_mov_b32_dpp v132, v116 row_shl:8 row_mask:0xf bank_mask:0xf bound_ctrl:1// 000000002D64: 7F0802FA FF090874
	v_and_b32_e32 v116, v116, v9                               // 000000002D6C: 26E81374
	v_mov_b32_dpp v133, v117 row_shl:8 row_mask:0xf bank_mask:0xf bound_ctrl:1// 000000002D70: 7F0A02FA FF090875
	v_and_b32_e32 v117, v117, v9                               // 000000002D78: 26EA1375
	v_mov_b32_dpp v134, v118 row_shl:8 row_mask:0xf bank_mask:0xf bound_ctrl:1// 000000002D7C: 7F0C02FA FF090876
	v_and_b32_e32 v118, v118, v9                               // 000000002D84: 26EC1376
	v_mov_b32_dpp v135, v119 row_shl:8 row_mask:0xf bank_mask:0xf bound_ctrl:1// 000000002D88: 7F0E02FA FF090877
	v_and_b32_e32 v119, v119, v9                               // 000000002D90: 26EE1377
	v_mov_b32_dpp v136, v120 row_shl:8 row_mask:0xf bank_mask:0xf bound_ctrl:1// 000000002D94: 7F1002FA FF090878
	v_and_b32_e32 v120, v120, v9                               // 000000002D9C: 26F01378
	v_mov_b32_dpp v137, v121 row_shl:8 row_mask:0xf bank_mask:0xf bound_ctrl:1// 000000002DA0: 7F1202FA FF090879
	v_and_b32_e32 v121, v121, v9                               // 000000002DA8: 26F21379
	v_mov_b32_dpp v138, v122 row_shl:8 row_mask:0xf bank_mask:0xf bound_ctrl:1// 000000002DAC: 7F1402FA FF09087A
	v_and_b32_e32 v122, v122, v9                               // 000000002DB4: 26F4137A
	v_mov_b32_dpp v139, v123 row_shl:8 row_mask:0xf bank_mask:0xf bound_ctrl:1// 000000002DB8: 7F1602FA FF09087B
	v_and_b32_e32 v123, v123, v9                               // 000000002DC0: 26F6137B
	v_mov_b32_dpp v140, v124 row_shl:8 row_mask:0xf bank_mask:0xf bound_ctrl:1// 000000002DC4: 7F1802FA FF09087C
	v_and_b32_e32 v124, v124, v9                               // 000000002DCC: 26F8137C
	v_mov_b32_dpp v141, v125 row_shl:8 row_mask:0xf bank_mask:0xf bound_ctrl:1// 000000002DD0: 7F1A02FA FF09087D
	v_and_b32_e32 v125, v125, v9                               // 000000002DD8: 26FA137D
	v_mov_b32_dpp v142, v126 row_shl:8 row_mask:0xf bank_mask:0xf bound_ctrl:1// 000000002DDC: 7F1C02FA FF09087E
	v_and_b32_e32 v126, v126, v9                               // 000000002DE4: 26FC137E
	v_mov_b32_dpp v143, v127 row_shl:8 row_mask:0xf bank_mask:0xf bound_ctrl:1// 000000002DE8: 7F1E02FA FF09087F
	v_and_b32_e32 v127, v127, v9                               // 000000002DF0: 26FE137F
	buffer_load_dwordx4 a[220:223], v207, s[20:23], 0 offen    // 000000002DF4: E05C1000 8085DCCF
	v_mul_f32_e32 v176, v51, v176                              // 000000002DFC: 0B616133
	v_mul_f32_e32 v177, v51, v177                              // 000000002E00: 0B636333
	v_mul_f32_e32 v178, v51, v178                              // 000000002E04: 0B656533
	v_mul_f32_e32 v179, v51, v179                              // 000000002E08: 0B676733
	v_mul_f32_e32 v180, v51, v180                              // 000000002E0C: 0B696933
	v_mul_f32_e32 v181, v51, v181                              // 000000002E10: 0B6B6B33
	v_mul_f32_e32 v182, v51, v182                              // 000000002E14: 0B6D6D33
	v_mul_f32_e32 v183, v51, v183                              // 000000002E18: 0B6F6F33
	s_waitcnt vmcnt(24)                                        // 000000002E1C: BF8C4F78
	v_mfma_f32_16x16x16_f16 v[176:179], a[128:129], v[112:113], v[176:179]// 000000002E20: D3CD00B0 0EC2E180
	v_mfma_f32_16x16x16_f16 v[176:179], a[130:131], v[114:115], v[176:179]// 000000002E28: D3CD00B0 0EC2E582
	buffer_load_dwordx4 a[224:227], v200, s[20:23], 0 offen offset:1024// 000000002E30: E05C1400 8085E0C8
	v_mfma_f32_16x16x16_f16 v[176:179], a[132:133], v[116:117], v[176:179]// 000000002E38: D3CD00B0 0EC2E984
	v_mfma_f32_16x16x16_f16 v[176:179], a[134:135], v[118:119], v[176:179]// 000000002E40: D3CD00B0 0EC2ED86
	v_mfma_f32_16x16x16_f16 v[176:179], a[136:137], v[120:121], v[176:179]// 000000002E48: D3CD00B0 0EC2F188
	v_mfma_f32_16x16x16_f16 v[176:179], a[138:139], v[122:123], v[176:179]// 000000002E50: D3CD00B0 0EC2F58A
	buffer_load_dwordx4 a[228:231], v201, s[20:23], 0 offen offset:1024// 000000002E58: E05C1400 8085E4C9
	v_mfma_f32_16x16x16_f16 v[176:179], a[140:141], v[124:125], v[176:179]// 000000002E60: D3CD00B0 0EC2F98C
	v_mfma_f32_16x16x16_f16 v[176:179], a[142:143], v[126:127], v[176:179]// 000000002E68: D3CD00B0 0EC2FD8E
	v_mfma_f32_16x16x16_f16 v[176:179], a[144:145], v[128:129], v[176:179]// 000000002E70: D3CD00B0 0EC30190
	v_mfma_f32_16x16x16_f16 v[176:179], a[146:147], v[130:131], v[176:179]// 000000002E78: D3CD00B0 0EC30592
	buffer_load_dwordx4 a[232:235], v202, s[20:23], 0 offen offset:1024// 000000002E80: E05C1400 8085E8CA
	v_mfma_f32_16x16x16_f16 v[176:179], a[148:149], v[132:133], v[176:179]// 000000002E88: D3CD00B0 0EC30994
	v_mfma_f32_16x16x16_f16 v[176:179], a[150:151], v[134:135], v[176:179]// 000000002E90: D3CD00B0 0EC30D96
	v_mfma_f32_16x16x16_f16 v[176:179], a[152:153], v[136:137], v[176:179]// 000000002E98: D3CD00B0 0EC31198
	v_mfma_f32_16x16x16_f16 v[176:179], a[154:155], v[138:139], v[176:179]// 000000002EA0: D3CD00B0 0EC3159A
	buffer_load_dwordx4 a[236:239], v203, s[20:23], 0 offen offset:1024// 000000002EA8: E05C1400 8085ECCB
	v_mfma_f32_16x16x16_f16 v[176:179], a[156:157], v[140:141], v[176:179]// 000000002EB0: D3CD00B0 0EC3199C
	v_mfma_f32_16x16x16_f16 v[176:179], a[158:159], v[142:143], v[176:179]// 000000002EB8: D3CD00B0 0EC31D9E
	v_mfma_f32_16x16x16_f16 v[180:183], a[160:161], v[112:113], v[180:183]// 000000002EC0: D3CD00B4 0ED2E1A0
	v_mfma_f32_16x16x16_f16 v[180:183], a[162:163], v[114:115], v[180:183]// 000000002EC8: D3CD00B4 0ED2E5A2
	buffer_load_dwordx4 a[240:243], v204, s[20:23], 0 offen offset:1024// 000000002ED0: E05C1400 8085F0CC
	v_mfma_f32_16x16x16_f16 v[180:183], a[164:165], v[116:117], v[180:183]// 000000002ED8: D3CD00B4 0ED2E9A4
	v_mfma_f32_16x16x16_f16 v[180:183], a[166:167], v[118:119], v[180:183]// 000000002EE0: D3CD00B4 0ED2EDA6
	v_mfma_f32_16x16x16_f16 v[180:183], a[168:169], v[120:121], v[180:183]// 000000002EE8: D3CD00B4 0ED2F1A8
	v_mfma_f32_16x16x16_f16 v[180:183], a[170:171], v[122:123], v[180:183]// 000000002EF0: D3CD00B4 0ED2F5AA
	buffer_load_dwordx4 a[244:247], v205, s[20:23], 0 offen offset:1024// 000000002EF8: E05C1400 8085F4CD
	v_mfma_f32_16x16x16_f16 v[180:183], a[172:173], v[124:125], v[180:183]// 000000002F00: D3CD00B4 0ED2F9AC
	v_mfma_f32_16x16x16_f16 v[180:183], a[174:175], v[126:127], v[180:183]// 000000002F08: D3CD00B4 0ED2FDAE
	v_mfma_f32_16x16x16_f16 v[180:183], a[176:177], v[128:129], v[180:183]// 000000002F10: D3CD00B4 0ED301B0
	v_mfma_f32_16x16x16_f16 v[180:183], a[178:179], v[130:131], v[180:183]// 000000002F18: D3CD00B4 0ED305B2
	buffer_load_dwordx4 a[248:251], v206, s[20:23], 0 offen offset:1024// 000000002F20: E05C1400 8085F8CE
	v_mfma_f32_16x16x16_f16 v[180:183], a[180:181], v[132:133], v[180:183]// 000000002F28: D3CD00B4 0ED309B4
	v_mfma_f32_16x16x16_f16 v[180:183], a[182:183], v[134:135], v[180:183]// 000000002F30: D3CD00B4 0ED30DB6
	v_mfma_f32_16x16x16_f16 v[180:183], a[184:185], v[136:137], v[180:183]// 000000002F38: D3CD00B4 0ED311B8
	v_mfma_f32_16x16x16_f16 v[180:183], a[186:187], v[138:139], v[180:183]// 000000002F40: D3CD00B4 0ED315BA
	buffer_load_dwordx4 a[252:255], v207, s[20:23], 0 offen offset:1024// 000000002F48: E05C1400 8085FCCF
	v_mfma_f32_16x16x16_f16 v[180:183], a[188:189], v[140:141], v[180:183]// 000000002F50: D3CD00B4 0ED319BC
	v_mfma_f32_16x16x16_f16 v[180:183], a[190:191], v[142:143], v[180:183]// 000000002F58: D3CD00B4 0ED31DBE
	s_lshr_b32 s60, s70, 4                                     // 000000002F60: 8F3C8446
	s_add_u32 s60, 48, s60                                     // 000000002F64: 803C3CB0
	s_cmp_ge_u32 s60, s73                                      // 000000002F68: BF09493C
	s_cselect_b32 s56, 0, s56                                  // 000000002F6C: 85383880
	v_mul_u32_u24_dpp v39, v17, v54 row_newbcast:0 row_mask:0xf bank_mask:0xf// 000000002F70: 104E6CFA FF015011
	v_mul_u32_u24_dpp v40, v17, v54 row_newbcast:4 row_mask:0xf bank_mask:0xf// 000000002F78: 10506CFA FF015411
	v_mul_u32_u24_dpp v41, v17, v54 row_newbcast:8 row_mask:0xf bank_mask:0xf// 000000002F80: 10526CFA FF015811
	v_mul_u32_u24_dpp v42, v17, v54 row_newbcast:12 row_mask:0xf bank_mask:0xf// 000000002F88: 10546CFA FF015C11
	v_add_u32_e32 v23, v39, v6                                 // 000000002F90: 682E0D27
	v_add_u32_e32 v24, v40, v6                                 // 000000002F94: 68300D28
	v_add_u32_e32 v25, v41, v6                                 // 000000002F98: 68320D29
	v_add_u32_e32 v26, v42, v6                                 // 000000002F9C: 68340D2A
	v_mul_u32_u24_dpp v39, v17, v54 row_newbcast:1 row_mask:0xf bank_mask:0xf// 000000002FA0: 104E6CFA FF015111
	v_mul_u32_u24_dpp v40, v17, v54 row_newbcast:2 row_mask:0xf bank_mask:0xf// 000000002FA8: 10506CFA FF015211
	v_mul_u32_u24_dpp v41, v17, v54 row_newbcast:5 row_mask:0xf bank_mask:0xf// 000000002FB0: 10526CFA FF015511
	v_mul_u32_u24_dpp v42, v17, v54 row_newbcast:6 row_mask:0xf bank_mask:0xf// 000000002FB8: 10546CFA FF015611
	v_add_u32_e32 v192, v39, v7                                // 000000002FC0: 69800F27
	v_add_u32_e32 v193, v40, v7                                // 000000002FC4: 69820F28
	v_add_u32_e32 v194, v41, v7                                // 000000002FC8: 69840F29
	v_add_u32_e32 v195, v42, v7                                // 000000002FCC: 69860F2A
	v_mul_u32_u24_dpp v39, v17, v54 row_newbcast:9 row_mask:0xf bank_mask:0xf// 000000002FD0: 104E6CFA FF015911
	v_mul_u32_u24_dpp v40, v17, v54 row_newbcast:10 row_mask:0xf bank_mask:0xf// 000000002FD8: 10506CFA FF015A11
	v_mul_u32_u24_dpp v41, v17, v54 row_newbcast:13 row_mask:0xf bank_mask:0xf// 000000002FE0: 10526CFA FF015D11
	v_mul_u32_u24_dpp v42, v17, v54 row_newbcast:7 row_mask:0xf bank_mask:0xf// 000000002FE8: 10546CFA FF015711
	v_add_u32_e32 v196, v39, v7                                // 000000002FF0: 69880F27
	v_add_u32_e32 v197, v40, v7                                // 000000002FF4: 698A0F28
	v_add_u32_e32 v198, v41, v7                                // 000000002FF8: 698C0F29
	v_add_u32_e32 v199, v42, v7                                // 000000002FFC: 698E0F2A
	v_add_u32_e32 v1, s56, v1                                  // 000000003000: 68020238
	s_addk_i32 s70, 0x100                                      // 000000003004: B7460100
	s_cmp_lt_i32 s70, s71                                      // 000000003008: BF044746
	s_cbranch_scc0 label_054F                                  // 00000000300C: BF8401CB
	s_waitcnt vmcnt(16) lgkmcnt(0)                             // 000000003010: BF8C4070
	v_mfma_f32_16x16x16_f16 v[112:115], a[64:65], v[80:81], 0  // 000000003014: D3CD0070 0A02A140
	v_mfma_f32_16x16x16_f16 v[112:115], a[66:67], v[82:83], v[112:115]// 00000000301C: D3CD0070 0DC2A542
	buffer_load_dwordx4 a[0:3], v23, s[16:19], 0 offen         // 000000003024: E05C1000 80840017
	v_mfma_f32_16x16x16_f16 v[112:115], a[68:69], v[84:85], v[112:115]// 00000000302C: D3CD0070 0DC2A944
	v_mfma_f32_16x16x16_f16 v[112:115], a[70:71], v[86:87], v[112:115]// 000000003034: D3CD0070 0DC2AD46
	buffer_load_dword v18, v1, s[24:27], 0 offen               // 00000000303C: E0501000 80061201
	v_mfma_f32_16x16x16_f16 v[112:115], a[72:73], v[88:89], v[112:115]// 000000003044: D3CD0070 0DC2B148
	v_mfma_f32_16x16x16_f16 v[112:115], a[74:75], v[90:91], v[112:115]// 00000000304C: D3CD0070 0DC2B54A
	buffer_load_dwordx4 a[4:7], v23, s[16:19], 0 offen offset:1024// 000000003054: E05C1400 80840417
	v_mfma_f32_16x16x16_f16 v[112:115], a[76:77], v[92:93], v[112:115]// 00000000305C: D3CD0070 0DC2B94C
	v_mfma_f32_16x16x16_f16 v[112:115], a[78:79], v[94:95], v[112:115]// 000000003064: D3CD0070 0DC2BD4E
	v_mfma_f32_16x16x16_f16 v[116:119], a[80:81], v[80:81], 0  // 00000000306C: D3CD0074 0A02A150
	v_mfma_f32_16x16x16_f16 v[116:119], a[82:83], v[82:83], v[116:119]// 000000003074: D3CD0074 0DD2A552
	buffer_load_dwordx4 a[8:11], v23, s[16:19], 0 offen offset:2048// 00000000307C: E05C1800 80840817
	v_mfma_f32_16x16x16_f16 v[116:119], a[84:85], v[84:85], v[116:119]// 000000003084: D3CD0074 0DD2A954
	v_mfma_f32_16x16x16_f16 v[116:119], a[86:87], v[86:87], v[116:119]// 00000000308C: D3CD0074 0DD2AD56
	v_mfma_f32_16x16x16_f16 v[116:119], a[88:89], v[88:89], v[116:119]// 000000003094: D3CD0074 0DD2B158
	v_mfma_f32_16x16x16_f16 v[116:119], a[90:91], v[90:91], v[116:119]// 00000000309C: D3CD0074 0DD2B55A
	buffer_load_dwordx4 a[12:15], v23, s[16:19], 0 offen offset:3072// 0000000030A4: E05C1C00 80840C17
	v_mfma_f32_16x16x16_f16 v[116:119], a[92:93], v[92:93], v[116:119]// 0000000030AC: D3CD0074 0DD2B95C
	v_mfma_f32_16x16x16_f16 v[116:119], a[94:95], v[94:95], v[116:119]// 0000000030B4: D3CD0074 0DD2BD5E
	v_mfma_f32_16x16x16_f16 v[120:123], a[96:97], v[80:81], 0  // 0000000030BC: D3CD0078 0A02A160
	v_mfma_f32_16x16x16_f16 v[120:123], a[98:99], v[82:83], v[120:123]// 0000000030C4: D3CD0078 0DE2A562
	buffer_load_dwordx4 a[16:19], v24, s[16:19], 0 offen       // 0000000030CC: E05C1000 80841018
	v_mfma_f32_16x16x16_f16 v[120:123], a[100:101], v[84:85], v[120:123]// 0000000030D4: D3CD0078 0DE2A964
	v_mfma_f32_16x16x16_f16 v[120:123], a[102:103], v[86:87], v[120:123]// 0000000030DC: D3CD0078 0DE2AD66
	v_mfma_f32_16x16x16_f16 v[120:123], a[104:105], v[88:89], v[120:123]// 0000000030E4: D3CD0078 0DE2B168
	v_mfma_f32_16x16x16_f16 v[120:123], a[106:107], v[90:91], v[120:123]// 0000000030EC: D3CD0078 0DE2B56A
	buffer_load_dwordx4 a[20:23], v24, s[16:19], 0 offen offset:1024// 0000000030F4: E05C1400 80841418
	v_mfma_f32_16x16x16_f16 v[120:123], a[108:109], v[92:93], v[120:123]// 0000000030FC: D3CD0078 0DE2B96C
	v_mfma_f32_16x16x16_f16 v[120:123], a[110:111], v[94:95], v[120:123]// 000000003104: D3CD0078 0DE2BD6E
	v_mfma_f32_16x16x16_f16 v[124:127], a[112:113], v[80:81], 0// 00000000310C: D3CD007C 0A02A170
	v_mfma_f32_16x16x16_f16 v[124:127], a[114:115], v[82:83], v[124:127]// 000000003114: D3CD007C 0DF2A572
	buffer_load_dwordx4 a[24:27], v24, s[16:19], 0 offen offset:2048// 00000000311C: E05C1800 80841818
	v_mfma_f32_16x16x16_f16 v[124:127], a[116:117], v[84:85], v[124:127]// 000000003124: D3CD007C 0DF2A974
	v_mfma_f32_16x16x16_f16 v[124:127], a[118:119], v[86:87], v[124:127]// 00000000312C: D3CD007C 0DF2AD76
	v_mfma_f32_16x16x16_f16 v[124:127], a[120:121], v[88:89], v[124:127]// 000000003134: D3CD007C 0DF2B178
	v_mfma_f32_16x16x16_f16 v[124:127], a[122:123], v[90:91], v[124:127]// 00000000313C: D3CD007C 0DF2B57A
	buffer_load_dwordx4 a[28:31], v24, s[16:19], 0 offen offset:3072// 000000003144: E05C1C00 80841C18
	v_mfma_f32_16x16x16_f16 v[124:127], a[124:125], v[92:93], v[124:127]// 00000000314C: D3CD007C 0DF2B97C
	v_mfma_f32_16x16x16_f16 v[124:127], a[126:127], v[94:95], v[124:127]// 000000003154: D3CD007C 0DF2BD7E
	buffer_load_dwordx4 a[32:35], v25, s[16:19], 0 offen       // 00000000315C: E05C1000 80842019
	s_nop 8                                                    // 000000003164: BF800008
	v_or_b32_dpp v112, v120, v112 row_shr:8 row_mask:0xf bank_mask:0xf bound_ctrl:1// 000000003168: 28E0E0FA FF091878
	v_or_b32_dpp v113, v121, v113 row_shr:8 row_mask:0xf bank_mask:0xf bound_ctrl:1// 000000003170: 28E2E2FA FF091879
	v_or_b32_dpp v114, v122, v114 row_shr:8 row_mask:0xf bank_mask:0xf bound_ctrl:1// 000000003178: 28E4E4FA FF09187A
	v_or_b32_dpp v115, v123, v115 row_shr:8 row_mask:0xf bank_mask:0xf bound_ctrl:1// 000000003180: 28E6E6FA FF09187B
	v_or_b32_dpp v116, v124, v116 row_shr:8 row_mask:0xf bank_mask:0xf bound_ctrl:1// 000000003188: 28E8E8FA FF09187C
	v_or_b32_dpp v117, v125, v117 row_shr:8 row_mask:0xf bank_mask:0xf bound_ctrl:1// 000000003190: 28EAEAFA FF09187D
	v_or_b32_dpp v118, v126, v118 row_shr:8 row_mask:0xf bank_mask:0xf bound_ctrl:1// 000000003198: 28ECECFA FF09187E
	v_or_b32_dpp v119, v127, v119 row_shr:8 row_mask:0xf bank_mask:0xf bound_ctrl:1// 0000000031A0: 28EEEEFA FF09187F
	buffer_load_dwordx4 a[36:39], v25, s[16:19], 0 offen offset:1024// 0000000031A8: E05C1400 80842419
	v_mov_b32_e32 v50, v112                                    // 0000000031B0: 7E640370
	v_max3_f32 v50, v112, v113, v50                            // 0000000031B4: D1D30032 04CAE370
	v_max3_f32 v50, v114, v115, v50                            // 0000000031BC: D1D30032 04CAE772
	v_max3_f32 v50, v116, v117, v50                            // 0000000031C4: D1D30032 04CAEB74
	v_max3_f32 v50, v118, v119, v50                            // 0000000031CC: D1D30032 04CAEF76
	ds_write_b32 v11, v50                                      // 0000000031D4: D81A0000 0000320B
	buffer_load_dwordx4 a[40:43], v25, s[16:19], 0 offen offset:2048// 0000000031DC: E05C1800 80842819
	s_waitcnt lgkmcnt(0)                                       // 0000000031E4: BF8CC07F
	s_barrier                                                  // 0000000031E8: BF8A0000
	ds_read_b32 v64, v10                                       // 0000000031EC: D86C0000 4000000A
	buffer_load_dwordx4 a[44:47], v25, s[16:19], 0 offen offset:3072// 0000000031F4: E05C1C00 80842C19
	ds_read_b32 v65, v10 offset:64                             // 0000000031FC: D86C0040 4100000A
	ds_read_b32 v66, v10 offset:128                            // 000000003204: D86C0080 4200000A
	ds_read_b32 v67, v10 offset:192                            // 00000000320C: D86C00C0 4300000A
	ds_read_b32 v68, v10 offset:256                            // 000000003214: D86C0100 4400000A
	ds_read_b32 v69, v10 offset:320                            // 00000000321C: D86C0140 4500000A
	ds_read_b32 v70, v10 offset:384                            // 000000003224: D86C0180 4600000A
	ds_read_b32 v71, v10 offset:448                            // 00000000322C: D86C01C0 4700000A
	ds_read_b32 v72, v10 offset:512                            // 000000003234: D86C0200 4800000A
	buffer_load_dwordx4 a[48:51], v26, s[16:19], 0 offen       // 00000000323C: E05C1000 8084301A
	ds_read_b32 v73, v10 offset:576                            // 000000003244: D86C0240 4900000A
	ds_read_b32 v74, v10 offset:640                            // 00000000324C: D86C0280 4A00000A
	ds_read_b32 v75, v10 offset:704                            // 000000003254: D86C02C0 4B00000A
	ds_read_b32 v76, v10 offset:768                            // 00000000325C: D86C0300 4C00000A
	ds_read_b32 v77, v10 offset:832                            // 000000003264: D86C0340 4D00000A
	ds_read_b32 v78, v10 offset:896                            // 00000000326C: D86C0380 4E00000A
	ds_read_b32 v79, v10 offset:960                            // 000000003274: D86C03C0 4F00000A
	buffer_load_dwordx4 a[52:55], v26, s[16:19], 0 offen offset:1024// 00000000327C: E05C1400 8084341A
	buffer_load_dwordx4 a[56:59], v26, s[16:19], 0 offen offset:2048// 000000003284: E05C1800 8084381A
	s_waitcnt lgkmcnt(0)                                       // 00000000328C: BF8CC07F
	v_max3_f32 v50, v64, v65, v50                              // 000000003290: D1D30032 04CA8340
	v_max3_f32 v50, v66, v67, v50                              // 000000003298: D1D30032 04CA8742
	v_max3_f32 v50, v68, v69, v50                              // 0000000032A0: D1D30032 04CA8B44
	v_max3_f32 v50, v70, v71, v50                              // 0000000032A8: D1D30032 04CA8F46
	v_max3_f32 v50, v72, v73, v50                              // 0000000032B0: D1D30032 04CA9348
	v_max3_f32 v50, v74, v75, v50                              // 0000000032B8: D1D30032 04CA974A
	v_max3_f32 v50, v76, v77, v50                              // 0000000032C0: D1D30032 04CA9B4C
	v_max3_f32 v50, v78, v79, v50                              // 0000000032C8: D1D30032 04CA9F4E
	buffer_load_dwordx4 a[60:63], v26, s[16:19], 0 offen offset:3072// 0000000032D0: E05C1C00 80843C1A
	v_cmp_eq_u32_e64 s[40:41], v55, v14                        // 0000000032D8: D0CA0028 00021D37
	s_nop 1                                                    // 0000000032E0: BF800001
	v_mov_b32_dpp v39, v50 row_ror:8 row_mask:0xf bank_mask:0xf// 0000000032E4: 7E4E02FA FF012832
	v_max_f32_e32 v50, v50, v39                                // 0000000032EC: 16644F32
	v_max_f32_e32 v16, v50, v14                                // 0000000032F0: 16201D32
	v_sub_f32_e32 v51, v14, v16                                // 0000000032F4: 0466210E
	v_cndmask_b32_e64 v51, v51, 0, s[40:41]                    // 0000000032F8: D1000033 00A10133
	v_mov_b32_e32 v14, v16                                     // 000000003300: 7E1C0310
	v_mul_f32_e32 v53, s64, v16                                // 000000003304: 0A6A2040
	v_mul_f32_e32 v51, s64, v51                                // 000000003308: 0A666640
	v_exp_f32_e32 v51, v51                                     // 00000000330C: 7E664133
	buffer_load_dwordx4 a[128:131], v192, s[20:23], 0 offen    // 000000003310: E05C1000 808580C0
	v_fma_f32 v112, v112, s64, -v53                            // 000000003318: D1CB0070 84D48170
	v_fma_f32 v113, v113, s64, -v53                            // 000000003320: D1CB0071 84D48171
	v_fma_f32 v114, v114, s64, -v53                            // 000000003328: D1CB0072 84D48172
	v_fma_f32 v115, v115, s64, -v53                            // 000000003330: D1CB0073 84D48173
	v_fma_f32 v116, v116, s64, -v53                            // 000000003338: D1CB0074 84D48174
	v_fma_f32 v117, v117, s64, -v53                            // 000000003340: D1CB0075 84D48175
	v_fma_f32 v118, v118, s64, -v53                            // 000000003348: D1CB0076 84D48176
	v_fma_f32 v119, v119, s64, -v53                            // 000000003350: D1CB0077 84D48177
	v_exp_f32_e32 v112, v112                                   // 000000003358: 7EE04170
	v_exp_f32_e32 v113, v113                                   // 00000000335C: 7EE24171
	v_exp_f32_e32 v114, v114                                   // 000000003360: 7EE44172
	v_exp_f32_e32 v115, v115                                   // 000000003364: 7EE64173
	v_exp_f32_e32 v116, v116                                   // 000000003368: 7EE84174
	v_exp_f32_e32 v117, v117                                   // 00000000336C: 7EEA4175
	v_exp_f32_e32 v118, v118                                   // 000000003370: 7EEC4176
	v_exp_f32_e32 v119, v119                                   // 000000003374: 7EEE4177
	buffer_load_dwordx4 a[132:135], v193, s[20:23], 0 offen    // 000000003378: E05C1000 808584C1
	v_mul_f32_e32 v43, v51, v43                                // 000000003380: 0A565733
	v_mov_b32_e32 v45, v112                                    // 000000003384: 7E5A0370
	v_add_f32_e32 v45, v113, v45                               // 000000003388: 025A5B71
	v_add_f32_e32 v45, v114, v45                               // 00000000338C: 025A5B72
	v_add_f32_e32 v45, v115, v45                               // 000000003390: 025A5B73
	v_add_f32_e32 v45, v116, v45                               // 000000003394: 025A5B74
	v_add_f32_e32 v45, v117, v45                               // 000000003398: 025A5B75
	v_add_f32_e32 v45, v118, v45                               // 00000000339C: 025A5B76
	v_add_f32_e32 v45, v119, v45                               // 0000000033A0: 025A5B77
	v_add_f32_e32 v43, v45, v43                                // 0000000033A4: 0256572D
	buffer_load_dwordx4 a[136:139], v194, s[20:23], 0 offen    // 0000000033A8: E05C1000 808588C2
	v_cvt_pkrtz_f16_f32 v39, v112, v113                        // 0000000033B0: D2960027 0002E370
	v_mov_b32_e32 v112, v39                                    // 0000000033B8: 7EE00327
	v_cvt_pkrtz_f16_f32 v39, v114, v115                        // 0000000033BC: D2960027 0002E772
	v_mov_b32_e32 v113, v39                                    // 0000000033C4: 7EE20327
	v_cvt_pkrtz_f16_f32 v39, v116, v117                        // 0000000033C8: D2960027 0002EB74
	v_mov_b32_e32 v114, v39                                    // 0000000033D0: 7EE40327
	v_cvt_pkrtz_f16_f32 v39, v118, v119                        // 0000000033D4: D2960027 0002EF76
	v_mov_b32_e32 v115, v39                                    // 0000000033DC: 7EE60327
	buffer_load_dwordx4 a[140:143], v195, s[20:23], 0 offen    // 0000000033E0: E05C1000 80858CC3
	buffer_load_dwordx4 a[144:147], v196, s[20:23], 0 offen    // 0000000033E8: E05C1000 808590C4
	ds_write_b64 v13, v[112:113] offset:4096                   // 0000000033F0: D89A1000 0000700D
	ds_write_b64 v13, v[114:115] offset:6144                   // 0000000033F8: D89A1800 0000720D
	buffer_load_dwordx4 a[148:151], v197, s[20:23], 0 offen    // 000000003400: E05C1000 808594C5
	s_waitcnt lgkmcnt(0)                                       // 000000003408: BF8CC07F
	s_barrier                                                  // 00000000340C: BF8A0000
	ds_read_b64 v[112:113], v12 offset:4096                    // 000000003410: D8EC1000 7000000C
	ds_read_b64 v[114:115], v12 offset:4224                    // 000000003418: D8EC1080 7200000C
	ds_read_b64 v[116:117], v12 offset:5120                    // 000000003420: D8EC1400 7400000C
	ds_read_b64 v[118:119], v12 offset:5248                    // 000000003428: D8EC1480 7600000C
	ds_read_b64 v[120:121], v12 offset:6144                    // 000000003430: D8EC1800 7800000C
	ds_read_b64 v[122:123], v12 offset:6272                    // 000000003438: D8EC1880 7A00000C
	ds_read_b64 v[124:125], v12 offset:7168                    // 000000003440: D8EC1C00 7C00000C
	ds_read_b64 v[126:127], v12 offset:7296                    // 000000003448: D8EC1C80 7E00000C
	buffer_load_dwordx4 a[152:155], v198, s[20:23], 0 offen    // 000000003450: E05C1000 808598C6
	s_waitcnt lgkmcnt(0)                                       // 000000003458: BF8CC07F
	v_mov_b32_dpp v128, v112 row_shl:8 row_mask:0xf bank_mask:0xf bound_ctrl:1// 00000000345C: 7F0002FA FF090870
	v_and_b32_e32 v112, v112, v9                               // 000000003464: 26E01370
	v_mov_b32_dpp v129, v113 row_shl:8 row_mask:0xf bank_mask:0xf bound_ctrl:1// 000000003468: 7F0202FA FF090871
	v_and_b32_e32 v113, v113, v9                               // 000000003470: 26E21371
	v_mov_b32_dpp v130, v114 row_shl:8 row_mask:0xf bank_mask:0xf bound_ctrl:1// 000000003474: 7F0402FA FF090872
	v_and_b32_e32 v114, v114, v9                               // 00000000347C: 26E41372
	v_mov_b32_dpp v131, v115 row_shl:8 row_mask:0xf bank_mask:0xf bound_ctrl:1// 000000003480: 7F0602FA FF090873
	v_and_b32_e32 v115, v115, v9                               // 000000003488: 26E61373
	v_mov_b32_dpp v132, v116 row_shl:8 row_mask:0xf bank_mask:0xf bound_ctrl:1// 00000000348C: 7F0802FA FF090874
	v_and_b32_e32 v116, v116, v9                               // 000000003494: 26E81374
	v_mov_b32_dpp v133, v117 row_shl:8 row_mask:0xf bank_mask:0xf bound_ctrl:1// 000000003498: 7F0A02FA FF090875
	v_and_b32_e32 v117, v117, v9                               // 0000000034A0: 26EA1375
	v_mov_b32_dpp v134, v118 row_shl:8 row_mask:0xf bank_mask:0xf bound_ctrl:1// 0000000034A4: 7F0C02FA FF090876
	v_and_b32_e32 v118, v118, v9                               // 0000000034AC: 26EC1376
	v_mov_b32_dpp v135, v119 row_shl:8 row_mask:0xf bank_mask:0xf bound_ctrl:1// 0000000034B0: 7F0E02FA FF090877
	v_and_b32_e32 v119, v119, v9                               // 0000000034B8: 26EE1377
	v_mov_b32_dpp v136, v120 row_shl:8 row_mask:0xf bank_mask:0xf bound_ctrl:1// 0000000034BC: 7F1002FA FF090878
	v_and_b32_e32 v120, v120, v9                               // 0000000034C4: 26F01378
	v_mov_b32_dpp v137, v121 row_shl:8 row_mask:0xf bank_mask:0xf bound_ctrl:1// 0000000034C8: 7F1202FA FF090879
	v_and_b32_e32 v121, v121, v9                               // 0000000034D0: 26F21379
	v_mov_b32_dpp v138, v122 row_shl:8 row_mask:0xf bank_mask:0xf bound_ctrl:1// 0000000034D4: 7F1402FA FF09087A
	v_and_b32_e32 v122, v122, v9                               // 0000000034DC: 26F4137A
	v_mov_b32_dpp v139, v123 row_shl:8 row_mask:0xf bank_mask:0xf bound_ctrl:1// 0000000034E0: 7F1602FA FF09087B
	v_and_b32_e32 v123, v123, v9                               // 0000000034E8: 26F6137B
	v_mov_b32_dpp v140, v124 row_shl:8 row_mask:0xf bank_mask:0xf bound_ctrl:1// 0000000034EC: 7F1802FA FF09087C
	v_and_b32_e32 v124, v124, v9                               // 0000000034F4: 26F8137C
	v_mov_b32_dpp v141, v125 row_shl:8 row_mask:0xf bank_mask:0xf bound_ctrl:1// 0000000034F8: 7F1A02FA FF09087D
	v_and_b32_e32 v125, v125, v9                               // 000000003500: 26FA137D
	v_mov_b32_dpp v142, v126 row_shl:8 row_mask:0xf bank_mask:0xf bound_ctrl:1// 000000003504: 7F1C02FA FF09087E
	v_and_b32_e32 v126, v126, v9                               // 00000000350C: 26FC137E
	v_mov_b32_dpp v143, v127 row_shl:8 row_mask:0xf bank_mask:0xf bound_ctrl:1// 000000003510: 7F1E02FA FF09087F
	v_and_b32_e32 v127, v127, v9                               // 000000003518: 26FE137F
	buffer_load_dwordx4 a[156:159], v199, s[20:23], 0 offen    // 00000000351C: E05C1000 80859CC7
	v_mul_f32_e32 v176, v51, v176                              // 000000003524: 0B616133
	v_mul_f32_e32 v177, v51, v177                              // 000000003528: 0B636333
	v_mul_f32_e32 v178, v51, v178                              // 00000000352C: 0B656533
	v_mul_f32_e32 v179, v51, v179                              // 000000003530: 0B676733
	v_mul_f32_e32 v180, v51, v180                              // 000000003534: 0B696933
	v_mul_f32_e32 v181, v51, v181                              // 000000003538: 0B6B6B33
	v_mul_f32_e32 v182, v51, v182                              // 00000000353C: 0B6D6D33
	v_mul_f32_e32 v183, v51, v183                              // 000000003540: 0B6F6F33
	s_waitcnt vmcnt(24)                                        // 000000003544: BF8C4F78
	v_mfma_f32_16x16x16_f16 v[176:179], a[192:193], v[112:113], v[176:179]// 000000003548: D3CD00B0 0EC2E1C0
	v_mfma_f32_16x16x16_f16 v[176:179], a[194:195], v[114:115], v[176:179]// 000000003550: D3CD00B0 0EC2E5C2
	buffer_load_dwordx4 a[160:163], v192, s[20:23], 0 offen offset:1024// 000000003558: E05C1400 8085A0C0
	v_mfma_f32_16x16x16_f16 v[176:179], a[196:197], v[116:117], v[176:179]// 000000003560: D3CD00B0 0EC2E9C4
	v_mfma_f32_16x16x16_f16 v[176:179], a[198:199], v[118:119], v[176:179]// 000000003568: D3CD00B0 0EC2EDC6
	v_mfma_f32_16x16x16_f16 v[176:179], a[200:201], v[120:121], v[176:179]// 000000003570: D3CD00B0 0EC2F1C8
	v_mfma_f32_16x16x16_f16 v[176:179], a[202:203], v[122:123], v[176:179]// 000000003578: D3CD00B0 0EC2F5CA
	buffer_load_dwordx4 a[164:167], v193, s[20:23], 0 offen offset:1024// 000000003580: E05C1400 8085A4C1
	v_mfma_f32_16x16x16_f16 v[176:179], a[204:205], v[124:125], v[176:179]// 000000003588: D3CD00B0 0EC2F9CC
	v_mfma_f32_16x16x16_f16 v[176:179], a[206:207], v[126:127], v[176:179]// 000000003590: D3CD00B0 0EC2FDCE
	v_mfma_f32_16x16x16_f16 v[176:179], a[208:209], v[128:129], v[176:179]// 000000003598: D3CD00B0 0EC301D0
	v_mfma_f32_16x16x16_f16 v[176:179], a[210:211], v[130:131], v[176:179]// 0000000035A0: D3CD00B0 0EC305D2
	buffer_load_dwordx4 a[168:171], v194, s[20:23], 0 offen offset:1024// 0000000035A8: E05C1400 8085A8C2
	v_mfma_f32_16x16x16_f16 v[176:179], a[212:213], v[132:133], v[176:179]// 0000000035B0: D3CD00B0 0EC309D4
	v_mfma_f32_16x16x16_f16 v[176:179], a[214:215], v[134:135], v[176:179]// 0000000035B8: D3CD00B0 0EC30DD6
	v_mfma_f32_16x16x16_f16 v[176:179], a[216:217], v[136:137], v[176:179]// 0000000035C0: D3CD00B0 0EC311D8
	v_mfma_f32_16x16x16_f16 v[176:179], a[218:219], v[138:139], v[176:179]// 0000000035C8: D3CD00B0 0EC315DA
	buffer_load_dwordx4 a[172:175], v195, s[20:23], 0 offen offset:1024// 0000000035D0: E05C1400 8085ACC3
	v_mfma_f32_16x16x16_f16 v[176:179], a[220:221], v[140:141], v[176:179]// 0000000035D8: D3CD00B0 0EC319DC
	v_mfma_f32_16x16x16_f16 v[176:179], a[222:223], v[142:143], v[176:179]// 0000000035E0: D3CD00B0 0EC31DDE
	v_mfma_f32_16x16x16_f16 v[180:183], a[224:225], v[112:113], v[180:183]// 0000000035E8: D3CD00B4 0ED2E1E0
	v_mfma_f32_16x16x16_f16 v[180:183], a[226:227], v[114:115], v[180:183]// 0000000035F0: D3CD00B4 0ED2E5E2
	buffer_load_dwordx4 a[176:179], v196, s[20:23], 0 offen offset:1024// 0000000035F8: E05C1400 8085B0C4
	v_mfma_f32_16x16x16_f16 v[180:183], a[228:229], v[116:117], v[180:183]// 000000003600: D3CD00B4 0ED2E9E4
	v_mfma_f32_16x16x16_f16 v[180:183], a[230:231], v[118:119], v[180:183]// 000000003608: D3CD00B4 0ED2EDE6
	v_mfma_f32_16x16x16_f16 v[180:183], a[232:233], v[120:121], v[180:183]// 000000003610: D3CD00B4 0ED2F1E8
	v_mfma_f32_16x16x16_f16 v[180:183], a[234:235], v[122:123], v[180:183]// 000000003618: D3CD00B4 0ED2F5EA
	buffer_load_dwordx4 a[180:183], v197, s[20:23], 0 offen offset:1024// 000000003620: E05C1400 8085B4C5
	v_mfma_f32_16x16x16_f16 v[180:183], a[236:237], v[124:125], v[180:183]// 000000003628: D3CD00B4 0ED2F9EC
	v_mfma_f32_16x16x16_f16 v[180:183], a[238:239], v[126:127], v[180:183]// 000000003630: D3CD00B4 0ED2FDEE
	v_mfma_f32_16x16x16_f16 v[180:183], a[240:241], v[128:129], v[180:183]// 000000003638: D3CD00B4 0ED301F0
	v_mfma_f32_16x16x16_f16 v[180:183], a[242:243], v[130:131], v[180:183]// 000000003640: D3CD00B4 0ED305F2
	buffer_load_dwordx4 a[184:187], v198, s[20:23], 0 offen offset:1024// 000000003648: E05C1400 8085B8C6
	v_mfma_f32_16x16x16_f16 v[180:183], a[244:245], v[132:133], v[180:183]// 000000003650: D3CD00B4 0ED309F4
	v_mfma_f32_16x16x16_f16 v[180:183], a[246:247], v[134:135], v[180:183]// 000000003658: D3CD00B4 0ED30DF6
	v_mfma_f32_16x16x16_f16 v[180:183], a[248:249], v[136:137], v[180:183]// 000000003660: D3CD00B4 0ED311F8
	v_mfma_f32_16x16x16_f16 v[180:183], a[250:251], v[138:139], v[180:183]// 000000003668: D3CD00B4 0ED315FA
	buffer_load_dwordx4 a[188:191], v199, s[20:23], 0 offen offset:1024// 000000003670: E05C1400 8085BCC7
	v_mfma_f32_16x16x16_f16 v[180:183], a[252:253], v[140:141], v[180:183]// 000000003678: D3CD00B4 0ED319FC
	v_mfma_f32_16x16x16_f16 v[180:183], a[254:255], v[142:143], v[180:183]// 000000003680: D3CD00B4 0ED31DFE
	s_lshr_b32 s60, s70, 4                                     // 000000003688: 8F3C8446
	s_add_u32 s60, 48, s60                                     // 00000000368C: 803C3CB0
	s_cmp_ge_u32 s60, s73                                      // 000000003690: BF09493C
	s_cselect_b32 s56, 0, s56                                  // 000000003694: 85383880
	v_mul_u32_u24_dpp v39, v18, v54 row_newbcast:0 row_mask:0xf bank_mask:0xf// 000000003698: 104E6CFA FF015012
	v_mul_u32_u24_dpp v40, v18, v54 row_newbcast:4 row_mask:0xf bank_mask:0xf// 0000000036A0: 10506CFA FF015412
	v_mul_u32_u24_dpp v41, v18, v54 row_newbcast:8 row_mask:0xf bank_mask:0xf// 0000000036A8: 10526CFA FF015812
	v_mul_u32_u24_dpp v42, v18, v54 row_newbcast:12 row_mask:0xf bank_mask:0xf// 0000000036B0: 10546CFA FF015C12
	v_add_u32_e32 v27, v39, v6                                 // 0000000036B8: 68360D27
	v_add_u32_e32 v28, v40, v6                                 // 0000000036BC: 68380D28
	v_add_u32_e32 v29, v41, v6                                 // 0000000036C0: 683A0D29
	v_add_u32_e32 v30, v42, v6                                 // 0000000036C4: 683C0D2A
	v_mul_u32_u24_dpp v39, v18, v54 row_newbcast:1 row_mask:0xf bank_mask:0xf// 0000000036C8: 104E6CFA FF015112
	v_mul_u32_u24_dpp v40, v18, v54 row_newbcast:2 row_mask:0xf bank_mask:0xf// 0000000036D0: 10506CFA FF015212
	v_mul_u32_u24_dpp v41, v18, v54 row_newbcast:5 row_mask:0xf bank_mask:0xf// 0000000036D8: 10526CFA FF015512
	v_mul_u32_u24_dpp v42, v18, v54 row_newbcast:6 row_mask:0xf bank_mask:0xf// 0000000036E0: 10546CFA FF015612
	v_add_u32_e32 v200, v39, v7                                // 0000000036E8: 69900F27
	v_add_u32_e32 v201, v40, v7                                // 0000000036EC: 69920F28
	v_add_u32_e32 v202, v41, v7                                // 0000000036F0: 69940F29
	v_add_u32_e32 v203, v42, v7                                // 0000000036F4: 69960F2A
	v_mul_u32_u24_dpp v39, v18, v54 row_newbcast:9 row_mask:0xf bank_mask:0xf// 0000000036F8: 104E6CFA FF015912
	v_mul_u32_u24_dpp v40, v18, v54 row_newbcast:10 row_mask:0xf bank_mask:0xf// 000000003700: 10506CFA FF015A12
	v_mul_u32_u24_dpp v41, v18, v54 row_newbcast:13 row_mask:0xf bank_mask:0xf// 000000003708: 10526CFA FF015D12
	v_mul_u32_u24_dpp v42, v18, v54 row_newbcast:7 row_mask:0xf bank_mask:0xf// 000000003710: 10546CFA FF015712
	v_add_u32_e32 v204, v39, v7                                // 000000003718: 69980F27
	v_add_u32_e32 v205, v40, v7                                // 00000000371C: 699A0F28
	v_add_u32_e32 v206, v41, v7                                // 000000003720: 699C0F29
	v_add_u32_e32 v207, v42, v7                                // 000000003724: 699E0F2A
	v_add_u32_e32 v1, s56, v1                                  // 000000003728: 68020238
	s_addk_i32 s70, 0x100                                      // 00000000372C: B7460100
	s_cmp_lt_i32 s70, s71                                      // 000000003730: BF044746
	s_cbranch_scc0 label_054F                                  // 000000003734: BF840001
	s_branch label_01BA                                        // 000000003738: BF82FC6B

000000000000373c <label_054F>:
	s_nop 0                                                    // 00000000373C: BF800000
	s_nop 0                                                    // 000000003740: BF800000
	s_branch label_08E7                                        // 000000003744: BF820395

0000000000003748 <label_0552>:
	s_waitcnt vmcnt(16) lgkmcnt(0)                             // 000000003748: BF8C4070
	v_mfma_f32_16x16x16_f16 v[112:115], a[0:1], v[80:81], 0    // 00000000374C: D3CD0070 0A02A100
	buffer_load_dwordx4 a[64:67], v27, s[16:19], 0 offen       // 000000003754: E05C1000 8084401B
	v_mfma_f32_16x16x16_f16 v[112:115], a[2:3], v[82:83], v[112:115]// 00000000375C: D3CD0070 0DC2A502
	v_mfma_f32_16x16x16_f16 v[112:115], a[4:5], v[84:85], v[112:115]// 000000003764: D3CD0070 0DC2A904
	buffer_load_dword v17, v1, s[24:27], 0 offen               // 00000000376C: E0501000 80061101
	v_mfma_f32_16x16x16_f16 v[112:115], a[6:7], v[86:87], v[112:115]// 000000003774: D3CD0070 0DC2AD06
	v_mfma_f32_16x16x16_f16 v[112:115], a[8:9], v[88:89], v[112:115]// 00000000377C: D3CD0070 0DC2B108
	buffer_load_dwordx4 a[68:71], v27, s[16:19], 0 offen offset:1024// 000000003784: E05C1400 8084441B
	v_mfma_f32_16x16x16_f16 v[112:115], a[10:11], v[90:91], v[112:115]// 00000000378C: D3CD0070 0DC2B50A
	v_mfma_f32_16x16x16_f16 v[112:115], a[12:13], v[92:93], v[112:115]// 000000003794: D3CD0070 0DC2B90C
	v_mfma_f32_16x16x16_f16 v[112:115], a[14:15], v[94:95], v[112:115]// 00000000379C: D3CD0070 0DC2BD0E
	v_mfma_f32_16x16x16_f16 v[116:119], a[16:17], v[80:81], 0  // 0000000037A4: D3CD0074 0A02A110
	buffer_load_dwordx4 a[72:75], v27, s[16:19], 0 offen offset:2048// 0000000037AC: E05C1800 8084481B
	v_mfma_f32_16x16x16_f16 v[116:119], a[18:19], v[82:83], v[116:119]// 0000000037B4: D3CD0074 0DD2A512
	v_mfma_f32_16x16x16_f16 v[116:119], a[20:21], v[84:85], v[116:119]// 0000000037BC: D3CD0074 0DD2A914
	v_mfma_f32_16x16x16_f16 v[116:119], a[22:23], v[86:87], v[116:119]// 0000000037C4: D3CD0074 0DD2AD16
	v_mfma_f32_16x16x16_f16 v[116:119], a[24:25], v[88:89], v[116:119]// 0000000037CC: D3CD0074 0DD2B118
	buffer_load_dwordx4 a[76:79], v27, s[16:19], 0 offen offset:3072// 0000000037D4: E05C1C00 80844C1B
	v_mfma_f32_16x16x16_f16 v[116:119], a[26:27], v[90:91], v[116:119]// 0000000037DC: D3CD0074 0DD2B51A
	v_mfma_f32_16x16x16_f16 v[116:119], a[28:29], v[92:93], v[116:119]// 0000000037E4: D3CD0074 0DD2B91C
	v_mfma_f32_16x16x16_f16 v[116:119], a[30:31], v[94:95], v[116:119]// 0000000037EC: D3CD0074 0DD2BD1E
	v_mfma_f32_16x16x16_f16 v[120:123], a[32:33], v[80:81], 0  // 0000000037F4: D3CD0078 0A02A120
	buffer_load_dwordx4 a[80:83], v28, s[16:19], 0 offen       // 0000000037FC: E05C1000 8084501C
	v_mfma_f32_16x16x16_f16 v[120:123], a[34:35], v[82:83], v[120:123]// 000000003804: D3CD0078 0DE2A522
	v_mfma_f32_16x16x16_f16 v[120:123], a[36:37], v[84:85], v[120:123]// 00000000380C: D3CD0078 0DE2A924
	v_mfma_f32_16x16x16_f16 v[120:123], a[38:39], v[86:87], v[120:123]// 000000003814: D3CD0078 0DE2AD26
	v_mfma_f32_16x16x16_f16 v[120:123], a[40:41], v[88:89], v[120:123]// 00000000381C: D3CD0078 0DE2B128
	buffer_load_dwordx4 a[84:87], v28, s[16:19], 0 offen offset:1024// 000000003824: E05C1400 8084541C
	v_mfma_f32_16x16x16_f16 v[120:123], a[42:43], v[90:91], v[120:123]// 00000000382C: D3CD0078 0DE2B52A
	v_mfma_f32_16x16x16_f16 v[120:123], a[44:45], v[92:93], v[120:123]// 000000003834: D3CD0078 0DE2B92C
	v_mfma_f32_16x16x16_f16 v[120:123], a[46:47], v[94:95], v[120:123]// 00000000383C: D3CD0078 0DE2BD2E
	v_mfma_f32_16x16x16_f16 v[124:127], a[48:49], v[80:81], 0  // 000000003844: D3CD007C 0A02A130
	buffer_load_dwordx4 a[88:91], v28, s[16:19], 0 offen offset:2048// 00000000384C: E05C1800 8084581C
	v_mfma_f32_16x16x16_f16 v[124:127], a[50:51], v[82:83], v[124:127]// 000000003854: D3CD007C 0DF2A532
	v_mfma_f32_16x16x16_f16 v[124:127], a[52:53], v[84:85], v[124:127]// 00000000385C: D3CD007C 0DF2A934
	v_mfma_f32_16x16x16_f16 v[124:127], a[54:55], v[86:87], v[124:127]// 000000003864: D3CD007C 0DF2AD36
	v_mfma_f32_16x16x16_f16 v[124:127], a[56:57], v[88:89], v[124:127]// 00000000386C: D3CD007C 0DF2B138
	buffer_load_dwordx4 a[92:95], v28, s[16:19], 0 offen offset:3072// 000000003874: E05C1C00 80845C1C
	v_mfma_f32_16x16x16_f16 v[124:127], a[58:59], v[90:91], v[124:127]// 00000000387C: D3CD007C 0DF2B53A
	v_mfma_f32_16x16x16_f16 v[124:127], a[60:61], v[92:93], v[124:127]// 000000003884: D3CD007C 0DF2B93C
	v_mfma_f32_16x16x16_f16 v[124:127], a[62:63], v[94:95], v[124:127]// 00000000388C: D3CD007C 0DF2BD3E
	buffer_load_dwordx4 a[96:99], v29, s[16:19], 0 offen       // 000000003894: E05C1000 8084601D
	s_nop 8                                                    // 00000000389C: BF800008
	v_or_b32_dpp v112, v120, v112 row_shr:8 row_mask:0xf bank_mask:0xf bound_ctrl:1// 0000000038A0: 28E0E0FA FF091878
	v_or_b32_dpp v113, v121, v113 row_shr:8 row_mask:0xf bank_mask:0xf bound_ctrl:1// 0000000038A8: 28E2E2FA FF091879
	v_or_b32_dpp v114, v122, v114 row_shr:8 row_mask:0xf bank_mask:0xf bound_ctrl:1// 0000000038B0: 28E4E4FA FF09187A
	v_or_b32_dpp v115, v123, v115 row_shr:8 row_mask:0xf bank_mask:0xf bound_ctrl:1// 0000000038B8: 28E6E6FA FF09187B
	v_or_b32_dpp v116, v124, v116 row_shr:8 row_mask:0xf bank_mask:0xf bound_ctrl:1// 0000000038C0: 28E8E8FA FF09187C
	v_or_b32_dpp v117, v125, v117 row_shr:8 row_mask:0xf bank_mask:0xf bound_ctrl:1// 0000000038C8: 28EAEAFA FF09187D
	v_or_b32_dpp v118, v126, v118 row_shr:8 row_mask:0xf bank_mask:0xf bound_ctrl:1// 0000000038D0: 28ECECFA FF09187E
	v_or_b32_dpp v119, v127, v119 row_shr:8 row_mask:0xf bank_mask:0xf bound_ctrl:1// 0000000038D8: 28EEEEFA FF09187F
	buffer_load_dwordx4 a[100:103], v29, s[16:19], 0 offen offset:1024// 0000000038E0: E05C1400 8084641D
	v_mov_b32_e32 v50, v112                                    // 0000000038E8: 7E640370
	v_max3_f32 v50, v112, v113, v50                            // 0000000038EC: D1D30032 04CAE370
	v_max3_f32 v50, v114, v115, v50                            // 0000000038F4: D1D30032 04CAE772
	v_max3_f32 v50, v116, v117, v50                            // 0000000038FC: D1D30032 04CAEB74
	v_max3_f32 v50, v118, v119, v50                            // 000000003904: D1D30032 04CAEF76
	ds_write_b32 v11, v50                                      // 00000000390C: D81A0000 0000320B
	buffer_load_dwordx4 a[104:107], v29, s[16:19], 0 offen offset:2048// 000000003914: E05C1800 8084681D
	s_waitcnt lgkmcnt(0)                                       // 00000000391C: BF8CC07F
	s_barrier                                                  // 000000003920: BF8A0000
	ds_read_b32 v64, v10                                       // 000000003924: D86C0000 4000000A
	buffer_load_dwordx4 a[108:111], v29, s[16:19], 0 offen offset:3072// 00000000392C: E05C1C00 80846C1D
	ds_read_b32 v65, v10 offset:64                             // 000000003934: D86C0040 4100000A
	ds_read_b32 v66, v10 offset:128                            // 00000000393C: D86C0080 4200000A
	ds_read_b32 v67, v10 offset:192                            // 000000003944: D86C00C0 4300000A
	ds_read_b32 v68, v10 offset:256                            // 00000000394C: D86C0100 4400000A
	ds_read_b32 v69, v10 offset:320                            // 000000003954: D86C0140 4500000A
	ds_read_b32 v70, v10 offset:384                            // 00000000395C: D86C0180 4600000A
	ds_read_b32 v71, v10 offset:448                            // 000000003964: D86C01C0 4700000A
	ds_read_b32 v72, v10 offset:512                            // 00000000396C: D86C0200 4800000A
	buffer_load_dwordx4 a[112:115], v30, s[16:19], 0 offen     // 000000003974: E05C1000 8084701E
	ds_read_b32 v73, v10 offset:576                            // 00000000397C: D86C0240 4900000A
	ds_read_b32 v74, v10 offset:640                            // 000000003984: D86C0280 4A00000A
	ds_read_b32 v75, v10 offset:704                            // 00000000398C: D86C02C0 4B00000A
	ds_read_b32 v76, v10 offset:768                            // 000000003994: D86C0300 4C00000A
	ds_read_b32 v77, v10 offset:832                            // 00000000399C: D86C0340 4D00000A
	ds_read_b32 v78, v10 offset:896                            // 0000000039A4: D86C0380 4E00000A
	ds_read_b32 v79, v10 offset:960                            // 0000000039AC: D86C03C0 4F00000A
	buffer_load_dwordx4 a[116:119], v30, s[16:19], 0 offen offset:1024// 0000000039B4: E05C1400 8084741E
	buffer_load_dwordx4 a[120:123], v30, s[16:19], 0 offen offset:2048// 0000000039BC: E05C1800 8084781E
	s_waitcnt lgkmcnt(0)                                       // 0000000039C4: BF8CC07F
	v_max3_f32 v50, v64, v65, v50                              // 0000000039C8: D1D30032 04CA8340
	v_max3_f32 v50, v66, v67, v50                              // 0000000039D0: D1D30032 04CA8742
	v_max3_f32 v50, v68, v69, v50                              // 0000000039D8: D1D30032 04CA8B44
	v_max3_f32 v50, v70, v71, v50                              // 0000000039E0: D1D30032 04CA8F46
	v_max3_f32 v50, v72, v73, v50                              // 0000000039E8: D1D30032 04CA9348
	v_max3_f32 v50, v74, v75, v50                              // 0000000039F0: D1D30032 04CA974A
	v_max3_f32 v50, v76, v77, v50                              // 0000000039F8: D1D30032 04CA9B4C
	v_max3_f32 v50, v78, v79, v50                              // 000000003A00: D1D30032 04CA9F4E
	buffer_load_dwordx4 a[124:127], v30, s[16:19], 0 offen offset:3072// 000000003A08: E05C1C00 80847C1E
	v_cmp_eq_u32_e64 s[40:41], v55, v14                        // 000000003A10: D0CA0028 00021D37
	s_nop 1                                                    // 000000003A18: BF800001
	v_mov_b32_dpp v39, v50 row_ror:8 row_mask:0xf bank_mask:0xf// 000000003A1C: 7E4E02FA FF012832
	v_max_f32_e32 v50, v50, v39                                // 000000003A24: 16644F32
	v_max_f32_e32 v16, v50, v14                                // 000000003A28: 16201D32
	v_sub_f32_e32 v51, v14, v16                                // 000000003A2C: 0466210E
	v_cndmask_b32_e64 v51, v51, 0, s[40:41]                    // 000000003A30: D1000033 00A10133
	v_mov_b32_e32 v14, v16                                     // 000000003A38: 7E1C0310
	v_mul_f32_e32 v53, s64, v16                                // 000000003A3C: 0A6A2040
	v_mul_f32_e32 v51, s64, v51                                // 000000003A40: 0A666640
	v_exp_f32_e32 v51, v51                                     // 000000003A44: 7E664133
	buffer_load_dwordx4 a[192:195], v200, s[20:23], 0 offen    // 000000003A48: E05C1000 8085C0C8
	v_fma_f32 v112, v112, s64, -v53                            // 000000003A50: D1CB0070 84D48170
	v_fma_f32 v113, v113, s64, -v53                            // 000000003A58: D1CB0071 84D48171
	v_fma_f32 v114, v114, s64, -v53                            // 000000003A60: D1CB0072 84D48172
	v_fma_f32 v115, v115, s64, -v53                            // 000000003A68: D1CB0073 84D48173
	v_fma_f32 v116, v116, s64, -v53                            // 000000003A70: D1CB0074 84D48174
	v_fma_f32 v117, v117, s64, -v53                            // 000000003A78: D1CB0075 84D48175
	v_fma_f32 v118, v118, s64, -v53                            // 000000003A80: D1CB0076 84D48176
	v_fma_f32 v119, v119, s64, -v53                            // 000000003A88: D1CB0077 84D48177
	v_exp_f32_e32 v112, v112                                   // 000000003A90: 7EE04170
	v_exp_f32_e32 v113, v113                                   // 000000003A94: 7EE24171
	v_exp_f32_e32 v114, v114                                   // 000000003A98: 7EE44172
	v_exp_f32_e32 v115, v115                                   // 000000003A9C: 7EE64173
	v_exp_f32_e32 v116, v116                                   // 000000003AA0: 7EE84174
	v_exp_f32_e32 v117, v117                                   // 000000003AA4: 7EEA4175
	v_exp_f32_e32 v118, v118                                   // 000000003AA8: 7EEC4176
	v_exp_f32_e32 v119, v119                                   // 000000003AAC: 7EEE4177
	buffer_load_dwordx4 a[196:199], v201, s[20:23], 0 offen    // 000000003AB0: E05C1000 8085C4C9
	v_mul_f32_e32 v43, v51, v43                                // 000000003AB8: 0A565733
	v_mov_b32_e32 v45, v112                                    // 000000003ABC: 7E5A0370
	v_add_f32_e32 v45, v113, v45                               // 000000003AC0: 025A5B71
	v_add_f32_e32 v45, v114, v45                               // 000000003AC4: 025A5B72
	v_add_f32_e32 v45, v115, v45                               // 000000003AC8: 025A5B73
	v_add_f32_e32 v45, v116, v45                               // 000000003ACC: 025A5B74
	v_add_f32_e32 v45, v117, v45                               // 000000003AD0: 025A5B75
	v_add_f32_e32 v45, v118, v45                               // 000000003AD4: 025A5B76
	v_add_f32_e32 v45, v119, v45                               // 000000003AD8: 025A5B77
	v_add_f32_e32 v43, v45, v43                                // 000000003ADC: 0256572D
	buffer_load_dwordx4 a[200:203], v202, s[20:23], 0 offen    // 000000003AE0: E05C1000 8085C8CA
	v_cvt_pkrtz_f16_f32 v39, v112, v113                        // 000000003AE8: D2960027 0002E370
	v_mov_b32_e32 v112, v39                                    // 000000003AF0: 7EE00327
	v_cvt_pkrtz_f16_f32 v39, v114, v115                        // 000000003AF4: D2960027 0002E772
	v_mov_b32_e32 v113, v39                                    // 000000003AFC: 7EE20327
	v_cvt_pkrtz_f16_f32 v39, v116, v117                        // 000000003B00: D2960027 0002EB74
	v_mov_b32_e32 v114, v39                                    // 000000003B08: 7EE40327
	v_cvt_pkrtz_f16_f32 v39, v118, v119                        // 000000003B0C: D2960027 0002EF76
	v_mov_b32_e32 v115, v39                                    // 000000003B14: 7EE60327
	buffer_load_dwordx4 a[204:207], v203, s[20:23], 0 offen    // 000000003B18: E05C1000 8085CCCB
	buffer_load_dwordx4 a[208:211], v204, s[20:23], 0 offen    // 000000003B20: E05C1000 8085D0CC
	ds_write_b64 v13, v[112:113] offset:4096                   // 000000003B28: D89A1000 0000700D
	ds_write_b64 v13, v[114:115] offset:6144                   // 000000003B30: D89A1800 0000720D
	buffer_load_dwordx4 a[212:215], v205, s[20:23], 0 offen    // 000000003B38: E05C1000 8085D4CD
	s_waitcnt lgkmcnt(0)                                       // 000000003B40: BF8CC07F
	s_barrier                                                  // 000000003B44: BF8A0000
	ds_read_b64 v[112:113], v12 offset:4096                    // 000000003B48: D8EC1000 7000000C
	ds_read_b64 v[114:115], v12 offset:4224                    // 000000003B50: D8EC1080 7200000C
	ds_read_b64 v[116:117], v12 offset:5120                    // 000000003B58: D8EC1400 7400000C
	ds_read_b64 v[118:119], v12 offset:5248                    // 000000003B60: D8EC1480 7600000C
	ds_read_b64 v[120:121], v12 offset:6144                    // 000000003B68: D8EC1800 7800000C
	ds_read_b64 v[122:123], v12 offset:6272                    // 000000003B70: D8EC1880 7A00000C
	ds_read_b64 v[124:125], v12 offset:7168                    // 000000003B78: D8EC1C00 7C00000C
	ds_read_b64 v[126:127], v12 offset:7296                    // 000000003B80: D8EC1C80 7E00000C
	buffer_load_dwordx4 a[216:219], v206, s[20:23], 0 offen    // 000000003B88: E05C1000 8085D8CE
	s_waitcnt lgkmcnt(0)                                       // 000000003B90: BF8CC07F
	v_mov_b32_dpp v128, v112 row_shl:8 row_mask:0xf bank_mask:0xf bound_ctrl:1// 000000003B94: 7F0002FA FF090870
	v_and_b32_e32 v112, v112, v9                               // 000000003B9C: 26E01370
	v_mov_b32_dpp v129, v113 row_shl:8 row_mask:0xf bank_mask:0xf bound_ctrl:1// 000000003BA0: 7F0202FA FF090871
	v_and_b32_e32 v113, v113, v9                               // 000000003BA8: 26E21371
	v_mov_b32_dpp v130, v114 row_shl:8 row_mask:0xf bank_mask:0xf bound_ctrl:1// 000000003BAC: 7F0402FA FF090872
	v_and_b32_e32 v114, v114, v9                               // 000000003BB4: 26E41372
	v_mov_b32_dpp v131, v115 row_shl:8 row_mask:0xf bank_mask:0xf bound_ctrl:1// 000000003BB8: 7F0602FA FF090873
	v_and_b32_e32 v115, v115, v9                               // 000000003BC0: 26E61373
	v_mov_b32_dpp v132, v116 row_shl:8 row_mask:0xf bank_mask:0xf bound_ctrl:1// 000000003BC4: 7F0802FA FF090874
	v_and_b32_e32 v116, v116, v9                               // 000000003BCC: 26E81374
	v_mov_b32_dpp v133, v117 row_shl:8 row_mask:0xf bank_mask:0xf bound_ctrl:1// 000000003BD0: 7F0A02FA FF090875
	v_and_b32_e32 v117, v117, v9                               // 000000003BD8: 26EA1375
	v_mov_b32_dpp v134, v118 row_shl:8 row_mask:0xf bank_mask:0xf bound_ctrl:1// 000000003BDC: 7F0C02FA FF090876
	v_and_b32_e32 v118, v118, v9                               // 000000003BE4: 26EC1376
	v_mov_b32_dpp v135, v119 row_shl:8 row_mask:0xf bank_mask:0xf bound_ctrl:1// 000000003BE8: 7F0E02FA FF090877
	v_and_b32_e32 v119, v119, v9                               // 000000003BF0: 26EE1377
	v_mov_b32_dpp v136, v120 row_shl:8 row_mask:0xf bank_mask:0xf bound_ctrl:1// 000000003BF4: 7F1002FA FF090878
	v_and_b32_e32 v120, v120, v9                               // 000000003BFC: 26F01378
	v_mov_b32_dpp v137, v121 row_shl:8 row_mask:0xf bank_mask:0xf bound_ctrl:1// 000000003C00: 7F1202FA FF090879
	v_and_b32_e32 v121, v121, v9                               // 000000003C08: 26F21379
	v_mov_b32_dpp v138, v122 row_shl:8 row_mask:0xf bank_mask:0xf bound_ctrl:1// 000000003C0C: 7F1402FA FF09087A
	v_and_b32_e32 v122, v122, v9                               // 000000003C14: 26F4137A
	v_mov_b32_dpp v139, v123 row_shl:8 row_mask:0xf bank_mask:0xf bound_ctrl:1// 000000003C18: 7F1602FA FF09087B
	v_and_b32_e32 v123, v123, v9                               // 000000003C20: 26F6137B
	v_mov_b32_dpp v140, v124 row_shl:8 row_mask:0xf bank_mask:0xf bound_ctrl:1// 000000003C24: 7F1802FA FF09087C
	v_and_b32_e32 v124, v124, v9                               // 000000003C2C: 26F8137C
	v_mov_b32_dpp v141, v125 row_shl:8 row_mask:0xf bank_mask:0xf bound_ctrl:1// 000000003C30: 7F1A02FA FF09087D
	v_and_b32_e32 v125, v125, v9                               // 000000003C38: 26FA137D
	v_mov_b32_dpp v142, v126 row_shl:8 row_mask:0xf bank_mask:0xf bound_ctrl:1// 000000003C3C: 7F1C02FA FF09087E
	v_and_b32_e32 v126, v126, v9                               // 000000003C44: 26FC137E
	v_mov_b32_dpp v143, v127 row_shl:8 row_mask:0xf bank_mask:0xf bound_ctrl:1// 000000003C48: 7F1E02FA FF09087F
	v_and_b32_e32 v127, v127, v9                               // 000000003C50: 26FE137F
	buffer_load_dwordx4 a[220:223], v207, s[20:23], 0 offen    // 000000003C54: E05C1000 8085DCCF
	v_mul_f32_e32 v176, v51, v176                              // 000000003C5C: 0B616133
	v_mul_f32_e32 v177, v51, v177                              // 000000003C60: 0B636333
	v_mul_f32_e32 v178, v51, v178                              // 000000003C64: 0B656533
	v_mul_f32_e32 v179, v51, v179                              // 000000003C68: 0B676733
	v_mul_f32_e32 v180, v51, v180                              // 000000003C6C: 0B696933
	v_mul_f32_e32 v181, v51, v181                              // 000000003C70: 0B6B6B33
	v_mul_f32_e32 v182, v51, v182                              // 000000003C74: 0B6D6D33
	v_mul_f32_e32 v183, v51, v183                              // 000000003C78: 0B6F6F33
	s_waitcnt vmcnt(24)                                        // 000000003C7C: BF8C4F78
	v_mfma_f32_16x16x16_f16 v[176:179], a[128:129], v[112:113], v[176:179]// 000000003C80: D3CD00B0 0EC2E180
	buffer_load_dwordx4 a[224:227], v200, s[20:23], 0 offen offset:1024// 000000003C88: E05C1400 8085E0C8
	v_mfma_f32_16x16x16_f16 v[176:179], a[130:131], v[114:115], v[176:179]// 000000003C90: D3CD00B0 0EC2E582
	v_mfma_f32_16x16x16_f16 v[176:179], a[132:133], v[116:117], v[176:179]// 000000003C98: D3CD00B0 0EC2E984
	v_mfma_f32_16x16x16_f16 v[176:179], a[134:135], v[118:119], v[176:179]// 000000003CA0: D3CD00B0 0EC2ED86
	v_mfma_f32_16x16x16_f16 v[176:179], a[136:137], v[120:121], v[176:179]// 000000003CA8: D3CD00B0 0EC2F188
	buffer_load_dwordx4 a[228:231], v201, s[20:23], 0 offen offset:1024// 000000003CB0: E05C1400 8085E4C9
	v_mfma_f32_16x16x16_f16 v[176:179], a[138:139], v[122:123], v[176:179]// 000000003CB8: D3CD00B0 0EC2F58A
	v_mfma_f32_16x16x16_f16 v[176:179], a[140:141], v[124:125], v[176:179]// 000000003CC0: D3CD00B0 0EC2F98C
	v_mfma_f32_16x16x16_f16 v[176:179], a[142:143], v[126:127], v[176:179]// 000000003CC8: D3CD00B0 0EC2FD8E
	v_mfma_f32_16x16x16_f16 v[176:179], a[144:145], v[128:129], v[176:179]// 000000003CD0: D3CD00B0 0EC30190
	buffer_load_dwordx4 a[232:235], v202, s[20:23], 0 offen offset:1024// 000000003CD8: E05C1400 8085E8CA
	v_mfma_f32_16x16x16_f16 v[176:179], a[146:147], v[130:131], v[176:179]// 000000003CE0: D3CD00B0 0EC30592
	v_mfma_f32_16x16x16_f16 v[176:179], a[148:149], v[132:133], v[176:179]// 000000003CE8: D3CD00B0 0EC30994
	v_mfma_f32_16x16x16_f16 v[176:179], a[150:151], v[134:135], v[176:179]// 000000003CF0: D3CD00B0 0EC30D96
	v_mfma_f32_16x16x16_f16 v[176:179], a[152:153], v[136:137], v[176:179]// 000000003CF8: D3CD00B0 0EC31198
	buffer_load_dwordx4 a[236:239], v203, s[20:23], 0 offen offset:1024// 000000003D00: E05C1400 8085ECCB
	v_mfma_f32_16x16x16_f16 v[176:179], a[154:155], v[138:139], v[176:179]// 000000003D08: D3CD00B0 0EC3159A
	v_mfma_f32_16x16x16_f16 v[176:179], a[156:157], v[140:141], v[176:179]// 000000003D10: D3CD00B0 0EC3199C
	v_mfma_f32_16x16x16_f16 v[176:179], a[158:159], v[142:143], v[176:179]// 000000003D18: D3CD00B0 0EC31D9E
	v_mfma_f32_16x16x16_f16 v[180:183], a[160:161], v[112:113], v[180:183]// 000000003D20: D3CD00B4 0ED2E1A0
	buffer_load_dwordx4 a[240:243], v204, s[20:23], 0 offen offset:1024// 000000003D28: E05C1400 8085F0CC
	v_mfma_f32_16x16x16_f16 v[180:183], a[162:163], v[114:115], v[180:183]// 000000003D30: D3CD00B4 0ED2E5A2
	v_mfma_f32_16x16x16_f16 v[180:183], a[164:165], v[116:117], v[180:183]// 000000003D38: D3CD00B4 0ED2E9A4
	v_mfma_f32_16x16x16_f16 v[180:183], a[166:167], v[118:119], v[180:183]// 000000003D40: D3CD00B4 0ED2EDA6
	v_mfma_f32_16x16x16_f16 v[180:183], a[168:169], v[120:121], v[180:183]// 000000003D48: D3CD00B4 0ED2F1A8
	buffer_load_dwordx4 a[244:247], v205, s[20:23], 0 offen offset:1024// 000000003D50: E05C1400 8085F4CD
	v_mfma_f32_16x16x16_f16 v[180:183], a[170:171], v[122:123], v[180:183]// 000000003D58: D3CD00B4 0ED2F5AA
	v_mfma_f32_16x16x16_f16 v[180:183], a[172:173], v[124:125], v[180:183]// 000000003D60: D3CD00B4 0ED2F9AC
	v_mfma_f32_16x16x16_f16 v[180:183], a[174:175], v[126:127], v[180:183]// 000000003D68: D3CD00B4 0ED2FDAE
	v_mfma_f32_16x16x16_f16 v[180:183], a[176:177], v[128:129], v[180:183]// 000000003D70: D3CD00B4 0ED301B0
	buffer_load_dwordx4 a[248:251], v206, s[20:23], 0 offen offset:1024// 000000003D78: E05C1400 8085F8CE
	v_mfma_f32_16x16x16_f16 v[180:183], a[178:179], v[130:131], v[180:183]// 000000003D80: D3CD00B4 0ED305B2
	v_mfma_f32_16x16x16_f16 v[180:183], a[180:181], v[132:133], v[180:183]// 000000003D88: D3CD00B4 0ED309B4
	v_mfma_f32_16x16x16_f16 v[180:183], a[182:183], v[134:135], v[180:183]// 000000003D90: D3CD00B4 0ED30DB6
	v_mfma_f32_16x16x16_f16 v[180:183], a[184:185], v[136:137], v[180:183]// 000000003D98: D3CD00B4 0ED311B8
	buffer_load_dwordx4 a[252:255], v207, s[20:23], 0 offen offset:1024// 000000003DA0: E05C1400 8085FCCF
	v_mfma_f32_16x16x16_f16 v[180:183], a[186:187], v[138:139], v[180:183]// 000000003DA8: D3CD00B4 0ED315BA
	v_mfma_f32_16x16x16_f16 v[180:183], a[188:189], v[140:141], v[180:183]// 000000003DB0: D3CD00B4 0ED319BC
	v_mfma_f32_16x16x16_f16 v[180:183], a[190:191], v[142:143], v[180:183]// 000000003DB8: D3CD00B4 0ED31DBE
	s_lshr_b32 s60, s70, 4                                     // 000000003DC0: 8F3C8446
	s_add_u32 s60, 48, s60                                     // 000000003DC4: 803C3CB0
	s_cmp_ge_u32 s60, s73                                      // 000000003DC8: BF09493C
	s_cselect_b32 s56, 0, s56                                  // 000000003DCC: 85383880
	v_mul_u32_u24_dpp v39, v17, v54 row_newbcast:0 row_mask:0xf bank_mask:0xf// 000000003DD0: 104E6CFA FF015011
	v_mul_u32_u24_dpp v40, v17, v54 row_newbcast:4 row_mask:0xf bank_mask:0xf// 000000003DD8: 10506CFA FF015411
	v_mul_u32_u24_dpp v41, v17, v54 row_newbcast:8 row_mask:0xf bank_mask:0xf// 000000003DE0: 10526CFA FF015811
	v_mul_u32_u24_dpp v42, v17, v54 row_newbcast:12 row_mask:0xf bank_mask:0xf// 000000003DE8: 10546CFA FF015C11
	v_add_u32_e32 v23, v39, v6                                 // 000000003DF0: 682E0D27
	v_add_u32_e32 v24, v40, v6                                 // 000000003DF4: 68300D28
	v_add_u32_e32 v25, v41, v6                                 // 000000003DF8: 68320D29
	v_add_u32_e32 v26, v42, v6                                 // 000000003DFC: 68340D2A
	v_mul_u32_u24_dpp v39, v17, v54 row_newbcast:1 row_mask:0xf bank_mask:0xf// 000000003E00: 104E6CFA FF015111
	v_mul_u32_u24_dpp v40, v17, v54 row_newbcast:2 row_mask:0xf bank_mask:0xf// 000000003E08: 10506CFA FF015211
	v_mul_u32_u24_dpp v41, v17, v54 row_newbcast:5 row_mask:0xf bank_mask:0xf// 000000003E10: 10526CFA FF015511
	v_mul_u32_u24_dpp v42, v17, v54 row_newbcast:6 row_mask:0xf bank_mask:0xf// 000000003E18: 10546CFA FF015611
	v_add_u32_e32 v192, v39, v7                                // 000000003E20: 69800F27
	v_add_u32_e32 v193, v40, v7                                // 000000003E24: 69820F28
	v_add_u32_e32 v194, v41, v7                                // 000000003E28: 69840F29
	v_add_u32_e32 v195, v42, v7                                // 000000003E2C: 69860F2A
	v_mul_u32_u24_dpp v39, v17, v54 row_newbcast:9 row_mask:0xf bank_mask:0xf// 000000003E30: 104E6CFA FF015911
	v_mul_u32_u24_dpp v40, v17, v54 row_newbcast:10 row_mask:0xf bank_mask:0xf// 000000003E38: 10506CFA FF015A11
	v_mul_u32_u24_dpp v41, v17, v54 row_newbcast:13 row_mask:0xf bank_mask:0xf// 000000003E40: 10526CFA FF015D11
	v_mul_u32_u24_dpp v42, v17, v54 row_newbcast:7 row_mask:0xf bank_mask:0xf// 000000003E48: 10546CFA FF015711
	v_add_u32_e32 v196, v39, v7                                // 000000003E50: 69880F27
	v_add_u32_e32 v197, v40, v7                                // 000000003E54: 698A0F28
	v_add_u32_e32 v198, v41, v7                                // 000000003E58: 698C0F29
	v_add_u32_e32 v199, v42, v7                                // 000000003E5C: 698E0F2A
	v_add_u32_e32 v1, s56, v1                                  // 000000003E60: 68020238
	s_addk_i32 s70, 0x100                                      // 000000003E64: B7460100
	s_cmp_lt_i32 s70, s71                                      // 000000003E68: BF044746
	s_cbranch_scc0 label_054F                                  // 000000003E6C: BF84FE33
	s_waitcnt vmcnt(16) lgkmcnt(0)                             // 000000003E70: BF8C4070
	v_mfma_f32_16x16x16_f16 v[112:115], a[64:65], v[80:81], 0  // 000000003E74: D3CD0070 0A02A140
	buffer_load_dwordx4 a[0:3], v23, s[16:19], 0 offen         // 000000003E7C: E05C1000 80840017
	v_mfma_f32_16x16x16_f16 v[112:115], a[66:67], v[82:83], v[112:115]// 000000003E84: D3CD0070 0DC2A542
	v_mfma_f32_16x16x16_f16 v[112:115], a[68:69], v[84:85], v[112:115]// 000000003E8C: D3CD0070 0DC2A944
	buffer_load_dword v18, v1, s[24:27], 0 offen               // 000000003E94: E0501000 80061201
	v_mfma_f32_16x16x16_f16 v[112:115], a[70:71], v[86:87], v[112:115]// 000000003E9C: D3CD0070 0DC2AD46
	v_mfma_f32_16x16x16_f16 v[112:115], a[72:73], v[88:89], v[112:115]// 000000003EA4: D3CD0070 0DC2B148
	buffer_load_dwordx4 a[4:7], v23, s[16:19], 0 offen offset:1024// 000000003EAC: E05C1400 80840417
	v_mfma_f32_16x16x16_f16 v[112:115], a[74:75], v[90:91], v[112:115]// 000000003EB4: D3CD0070 0DC2B54A
	v_mfma_f32_16x16x16_f16 v[112:115], a[76:77], v[92:93], v[112:115]// 000000003EBC: D3CD0070 0DC2B94C
	v_mfma_f32_16x16x16_f16 v[112:115], a[78:79], v[94:95], v[112:115]// 000000003EC4: D3CD0070 0DC2BD4E
	v_mfma_f32_16x16x16_f16 v[116:119], a[80:81], v[80:81], 0  // 000000003ECC: D3CD0074 0A02A150
	buffer_load_dwordx4 a[8:11], v23, s[16:19], 0 offen offset:2048// 000000003ED4: E05C1800 80840817
	v_mfma_f32_16x16x16_f16 v[116:119], a[82:83], v[82:83], v[116:119]// 000000003EDC: D3CD0074 0DD2A552
	v_mfma_f32_16x16x16_f16 v[116:119], a[84:85], v[84:85], v[116:119]// 000000003EE4: D3CD0074 0DD2A954
	v_mfma_f32_16x16x16_f16 v[116:119], a[86:87], v[86:87], v[116:119]// 000000003EEC: D3CD0074 0DD2AD56
	v_mfma_f32_16x16x16_f16 v[116:119], a[88:89], v[88:89], v[116:119]// 000000003EF4: D3CD0074 0DD2B158
	buffer_load_dwordx4 a[12:15], v23, s[16:19], 0 offen offset:3072// 000000003EFC: E05C1C00 80840C17
	v_mfma_f32_16x16x16_f16 v[116:119], a[90:91], v[90:91], v[116:119]// 000000003F04: D3CD0074 0DD2B55A
	v_mfma_f32_16x16x16_f16 v[116:119], a[92:93], v[92:93], v[116:119]// 000000003F0C: D3CD0074 0DD2B95C
	v_mfma_f32_16x16x16_f16 v[116:119], a[94:95], v[94:95], v[116:119]// 000000003F14: D3CD0074 0DD2BD5E
	v_mfma_f32_16x16x16_f16 v[120:123], a[96:97], v[80:81], 0  // 000000003F1C: D3CD0078 0A02A160
	buffer_load_dwordx4 a[16:19], v24, s[16:19], 0 offen       // 000000003F24: E05C1000 80841018
	v_mfma_f32_16x16x16_f16 v[120:123], a[98:99], v[82:83], v[120:123]// 000000003F2C: D3CD0078 0DE2A562
	v_mfma_f32_16x16x16_f16 v[120:123], a[100:101], v[84:85], v[120:123]// 000000003F34: D3CD0078 0DE2A964
	v_mfma_f32_16x16x16_f16 v[120:123], a[102:103], v[86:87], v[120:123]// 000000003F3C: D3CD0078 0DE2AD66
	v_mfma_f32_16x16x16_f16 v[120:123], a[104:105], v[88:89], v[120:123]// 000000003F44: D3CD0078 0DE2B168
	buffer_load_dwordx4 a[20:23], v24, s[16:19], 0 offen offset:1024// 000000003F4C: E05C1400 80841418
	v_mfma_f32_16x16x16_f16 v[120:123], a[106:107], v[90:91], v[120:123]// 000000003F54: D3CD0078 0DE2B56A
	v_mfma_f32_16x16x16_f16 v[120:123], a[108:109], v[92:93], v[120:123]// 000000003F5C: D3CD0078 0DE2B96C
	v_mfma_f32_16x16x16_f16 v[120:123], a[110:111], v[94:95], v[120:123]// 000000003F64: D3CD0078 0DE2BD6E
	v_mfma_f32_16x16x16_f16 v[124:127], a[112:113], v[80:81], 0// 000000003F6C: D3CD007C 0A02A170
	buffer_load_dwordx4 a[24:27], v24, s[16:19], 0 offen offset:2048// 000000003F74: E05C1800 80841818
	v_mfma_f32_16x16x16_f16 v[124:127], a[114:115], v[82:83], v[124:127]// 000000003F7C: D3CD007C 0DF2A572
	v_mfma_f32_16x16x16_f16 v[124:127], a[116:117], v[84:85], v[124:127]// 000000003F84: D3CD007C 0DF2A974
	v_mfma_f32_16x16x16_f16 v[124:127], a[118:119], v[86:87], v[124:127]// 000000003F8C: D3CD007C 0DF2AD76
	v_mfma_f32_16x16x16_f16 v[124:127], a[120:121], v[88:89], v[124:127]// 000000003F94: D3CD007C 0DF2B178
	buffer_load_dwordx4 a[28:31], v24, s[16:19], 0 offen offset:3072// 000000003F9C: E05C1C00 80841C18
	v_mfma_f32_16x16x16_f16 v[124:127], a[122:123], v[90:91], v[124:127]// 000000003FA4: D3CD007C 0DF2B57A
	v_mfma_f32_16x16x16_f16 v[124:127], a[124:125], v[92:93], v[124:127]// 000000003FAC: D3CD007C 0DF2B97C
	v_mfma_f32_16x16x16_f16 v[124:127], a[126:127], v[94:95], v[124:127]// 000000003FB4: D3CD007C 0DF2BD7E
	buffer_load_dwordx4 a[32:35], v25, s[16:19], 0 offen       // 000000003FBC: E05C1000 80842019
	s_nop 8                                                    // 000000003FC4: BF800008
	v_or_b32_dpp v112, v120, v112 row_shr:8 row_mask:0xf bank_mask:0xf bound_ctrl:1// 000000003FC8: 28E0E0FA FF091878
	v_or_b32_dpp v113, v121, v113 row_shr:8 row_mask:0xf bank_mask:0xf bound_ctrl:1// 000000003FD0: 28E2E2FA FF091879
	v_or_b32_dpp v114, v122, v114 row_shr:8 row_mask:0xf bank_mask:0xf bound_ctrl:1// 000000003FD8: 28E4E4FA FF09187A
	v_or_b32_dpp v115, v123, v115 row_shr:8 row_mask:0xf bank_mask:0xf bound_ctrl:1// 000000003FE0: 28E6E6FA FF09187B
	v_or_b32_dpp v116, v124, v116 row_shr:8 row_mask:0xf bank_mask:0xf bound_ctrl:1// 000000003FE8: 28E8E8FA FF09187C
	v_or_b32_dpp v117, v125, v117 row_shr:8 row_mask:0xf bank_mask:0xf bound_ctrl:1// 000000003FF0: 28EAEAFA FF09187D
	v_or_b32_dpp v118, v126, v118 row_shr:8 row_mask:0xf bank_mask:0xf bound_ctrl:1// 000000003FF8: 28ECECFA FF09187E
	v_or_b32_dpp v119, v127, v119 row_shr:8 row_mask:0xf bank_mask:0xf bound_ctrl:1// 000000004000: 28EEEEFA FF09187F
	buffer_load_dwordx4 a[36:39], v25, s[16:19], 0 offen offset:1024// 000000004008: E05C1400 80842419
	v_mov_b32_e32 v50, v112                                    // 000000004010: 7E640370
	v_max3_f32 v50, v112, v113, v50                            // 000000004014: D1D30032 04CAE370
	v_max3_f32 v50, v114, v115, v50                            // 00000000401C: D1D30032 04CAE772
	v_max3_f32 v50, v116, v117, v50                            // 000000004024: D1D30032 04CAEB74
	v_max3_f32 v50, v118, v119, v50                            // 00000000402C: D1D30032 04CAEF76
	ds_write_b32 v11, v50                                      // 000000004034: D81A0000 0000320B
	buffer_load_dwordx4 a[40:43], v25, s[16:19], 0 offen offset:2048// 00000000403C: E05C1800 80842819
	s_waitcnt lgkmcnt(0)                                       // 000000004044: BF8CC07F
	s_barrier                                                  // 000000004048: BF8A0000
	ds_read_b32 v64, v10                                       // 00000000404C: D86C0000 4000000A
	buffer_load_dwordx4 a[44:47], v25, s[16:19], 0 offen offset:3072// 000000004054: E05C1C00 80842C19
	ds_read_b32 v65, v10 offset:64                             // 00000000405C: D86C0040 4100000A
	ds_read_b32 v66, v10 offset:128                            // 000000004064: D86C0080 4200000A
	ds_read_b32 v67, v10 offset:192                            // 00000000406C: D86C00C0 4300000A
	ds_read_b32 v68, v10 offset:256                            // 000000004074: D86C0100 4400000A
	ds_read_b32 v69, v10 offset:320                            // 00000000407C: D86C0140 4500000A
	ds_read_b32 v70, v10 offset:384                            // 000000004084: D86C0180 4600000A
	ds_read_b32 v71, v10 offset:448                            // 00000000408C: D86C01C0 4700000A
	ds_read_b32 v72, v10 offset:512                            // 000000004094: D86C0200 4800000A
	buffer_load_dwordx4 a[48:51], v26, s[16:19], 0 offen       // 00000000409C: E05C1000 8084301A
	ds_read_b32 v73, v10 offset:576                            // 0000000040A4: D86C0240 4900000A
	ds_read_b32 v74, v10 offset:640                            // 0000000040AC: D86C0280 4A00000A
	ds_read_b32 v75, v10 offset:704                            // 0000000040B4: D86C02C0 4B00000A
	ds_read_b32 v76, v10 offset:768                            // 0000000040BC: D86C0300 4C00000A
	ds_read_b32 v77, v10 offset:832                            // 0000000040C4: D86C0340 4D00000A
	ds_read_b32 v78, v10 offset:896                            // 0000000040CC: D86C0380 4E00000A
	ds_read_b32 v79, v10 offset:960                            // 0000000040D4: D86C03C0 4F00000A
	buffer_load_dwordx4 a[52:55], v26, s[16:19], 0 offen offset:1024// 0000000040DC: E05C1400 8084341A
	buffer_load_dwordx4 a[56:59], v26, s[16:19], 0 offen offset:2048// 0000000040E4: E05C1800 8084381A
	s_waitcnt lgkmcnt(0)                                       // 0000000040EC: BF8CC07F
	v_max3_f32 v50, v64, v65, v50                              // 0000000040F0: D1D30032 04CA8340
	v_max3_f32 v50, v66, v67, v50                              // 0000000040F8: D1D30032 04CA8742
	v_max3_f32 v50, v68, v69, v50                              // 000000004100: D1D30032 04CA8B44
	v_max3_f32 v50, v70, v71, v50                              // 000000004108: D1D30032 04CA8F46
	v_max3_f32 v50, v72, v73, v50                              // 000000004110: D1D30032 04CA9348
	v_max3_f32 v50, v74, v75, v50                              // 000000004118: D1D30032 04CA974A
	v_max3_f32 v50, v76, v77, v50                              // 000000004120: D1D30032 04CA9B4C
	v_max3_f32 v50, v78, v79, v50                              // 000000004128: D1D30032 04CA9F4E
	buffer_load_dwordx4 a[60:63], v26, s[16:19], 0 offen offset:3072// 000000004130: E05C1C00 80843C1A
	v_cmp_eq_u32_e64 s[40:41], v55, v14                        // 000000004138: D0CA0028 00021D37
	s_nop 1                                                    // 000000004140: BF800001
	v_mov_b32_dpp v39, v50 row_ror:8 row_mask:0xf bank_mask:0xf// 000000004144: 7E4E02FA FF012832
	v_max_f32_e32 v50, v50, v39                                // 00000000414C: 16644F32
	v_max_f32_e32 v16, v50, v14                                // 000000004150: 16201D32
	v_sub_f32_e32 v51, v14, v16                                // 000000004154: 0466210E
	v_cndmask_b32_e64 v51, v51, 0, s[40:41]                    // 000000004158: D1000033 00A10133
	v_mov_b32_e32 v14, v16                                     // 000000004160: 7E1C0310
	v_mul_f32_e32 v53, s64, v16                                // 000000004164: 0A6A2040
	v_mul_f32_e32 v51, s64, v51                                // 000000004168: 0A666640
	v_exp_f32_e32 v51, v51                                     // 00000000416C: 7E664133
	buffer_load_dwordx4 a[128:131], v192, s[20:23], 0 offen    // 000000004170: E05C1000 808580C0
	v_fma_f32 v112, v112, s64, -v53                            // 000000004178: D1CB0070 84D48170
	v_fma_f32 v113, v113, s64, -v53                            // 000000004180: D1CB0071 84D48171
	v_fma_f32 v114, v114, s64, -v53                            // 000000004188: D1CB0072 84D48172
	v_fma_f32 v115, v115, s64, -v53                            // 000000004190: D1CB0073 84D48173
	v_fma_f32 v116, v116, s64, -v53                            // 000000004198: D1CB0074 84D48174
	v_fma_f32 v117, v117, s64, -v53                            // 0000000041A0: D1CB0075 84D48175
	v_fma_f32 v118, v118, s64, -v53                            // 0000000041A8: D1CB0076 84D48176
	v_fma_f32 v119, v119, s64, -v53                            // 0000000041B0: D1CB0077 84D48177
	v_exp_f32_e32 v112, v112                                   // 0000000041B8: 7EE04170
	v_exp_f32_e32 v113, v113                                   // 0000000041BC: 7EE24171
	v_exp_f32_e32 v114, v114                                   // 0000000041C0: 7EE44172
	v_exp_f32_e32 v115, v115                                   // 0000000041C4: 7EE64173
	v_exp_f32_e32 v116, v116                                   // 0000000041C8: 7EE84174
	v_exp_f32_e32 v117, v117                                   // 0000000041CC: 7EEA4175
	v_exp_f32_e32 v118, v118                                   // 0000000041D0: 7EEC4176
	v_exp_f32_e32 v119, v119                                   // 0000000041D4: 7EEE4177
	buffer_load_dwordx4 a[132:135], v193, s[20:23], 0 offen    // 0000000041D8: E05C1000 808584C1
	v_mul_f32_e32 v43, v51, v43                                // 0000000041E0: 0A565733
	v_mov_b32_e32 v45, v112                                    // 0000000041E4: 7E5A0370
	v_add_f32_e32 v45, v113, v45                               // 0000000041E8: 025A5B71
	v_add_f32_e32 v45, v114, v45                               // 0000000041EC: 025A5B72
	v_add_f32_e32 v45, v115, v45                               // 0000000041F0: 025A5B73
	v_add_f32_e32 v45, v116, v45                               // 0000000041F4: 025A5B74
	v_add_f32_e32 v45, v117, v45                               // 0000000041F8: 025A5B75
	v_add_f32_e32 v45, v118, v45                               // 0000000041FC: 025A5B76
	v_add_f32_e32 v45, v119, v45                               // 000000004200: 025A5B77
	v_add_f32_e32 v43, v45, v43                                // 000000004204: 0256572D
	buffer_load_dwordx4 a[136:139], v194, s[20:23], 0 offen    // 000000004208: E05C1000 808588C2
	v_cvt_pkrtz_f16_f32 v39, v112, v113                        // 000000004210: D2960027 0002E370
	v_mov_b32_e32 v112, v39                                    // 000000004218: 7EE00327
	v_cvt_pkrtz_f16_f32 v39, v114, v115                        // 00000000421C: D2960027 0002E772
	v_mov_b32_e32 v113, v39                                    // 000000004224: 7EE20327
	v_cvt_pkrtz_f16_f32 v39, v116, v117                        // 000000004228: D2960027 0002EB74
	v_mov_b32_e32 v114, v39                                    // 000000004230: 7EE40327
	v_cvt_pkrtz_f16_f32 v39, v118, v119                        // 000000004234: D2960027 0002EF76
	v_mov_b32_e32 v115, v39                                    // 00000000423C: 7EE60327
	buffer_load_dwordx4 a[140:143], v195, s[20:23], 0 offen    // 000000004240: E05C1000 80858CC3
	buffer_load_dwordx4 a[144:147], v196, s[20:23], 0 offen    // 000000004248: E05C1000 808590C4
	ds_write_b64 v13, v[112:113] offset:4096                   // 000000004250: D89A1000 0000700D
	ds_write_b64 v13, v[114:115] offset:6144                   // 000000004258: D89A1800 0000720D
	buffer_load_dwordx4 a[148:151], v197, s[20:23], 0 offen    // 000000004260: E05C1000 808594C5
	s_waitcnt lgkmcnt(0)                                       // 000000004268: BF8CC07F
	s_barrier                                                  // 00000000426C: BF8A0000
	ds_read_b64 v[112:113], v12 offset:4096                    // 000000004270: D8EC1000 7000000C
	ds_read_b64 v[114:115], v12 offset:4224                    // 000000004278: D8EC1080 7200000C
	ds_read_b64 v[116:117], v12 offset:5120                    // 000000004280: D8EC1400 7400000C
	ds_read_b64 v[118:119], v12 offset:5248                    // 000000004288: D8EC1480 7600000C
	ds_read_b64 v[120:121], v12 offset:6144                    // 000000004290: D8EC1800 7800000C
	ds_read_b64 v[122:123], v12 offset:6272                    // 000000004298: D8EC1880 7A00000C
	ds_read_b64 v[124:125], v12 offset:7168                    // 0000000042A0: D8EC1C00 7C00000C
	ds_read_b64 v[126:127], v12 offset:7296                    // 0000000042A8: D8EC1C80 7E00000C
	buffer_load_dwordx4 a[152:155], v198, s[20:23], 0 offen    // 0000000042B0: E05C1000 808598C6
	s_waitcnt lgkmcnt(0)                                       // 0000000042B8: BF8CC07F
	v_mov_b32_dpp v128, v112 row_shl:8 row_mask:0xf bank_mask:0xf bound_ctrl:1// 0000000042BC: 7F0002FA FF090870
	v_and_b32_e32 v112, v112, v9                               // 0000000042C4: 26E01370
	v_mov_b32_dpp v129, v113 row_shl:8 row_mask:0xf bank_mask:0xf bound_ctrl:1// 0000000042C8: 7F0202FA FF090871
	v_and_b32_e32 v113, v113, v9                               // 0000000042D0: 26E21371
	v_mov_b32_dpp v130, v114 row_shl:8 row_mask:0xf bank_mask:0xf bound_ctrl:1// 0000000042D4: 7F0402FA FF090872
	v_and_b32_e32 v114, v114, v9                               // 0000000042DC: 26E41372
	v_mov_b32_dpp v131, v115 row_shl:8 row_mask:0xf bank_mask:0xf bound_ctrl:1// 0000000042E0: 7F0602FA FF090873
	v_and_b32_e32 v115, v115, v9                               // 0000000042E8: 26E61373
	v_mov_b32_dpp v132, v116 row_shl:8 row_mask:0xf bank_mask:0xf bound_ctrl:1// 0000000042EC: 7F0802FA FF090874
	v_and_b32_e32 v116, v116, v9                               // 0000000042F4: 26E81374
	v_mov_b32_dpp v133, v117 row_shl:8 row_mask:0xf bank_mask:0xf bound_ctrl:1// 0000000042F8: 7F0A02FA FF090875
	v_and_b32_e32 v117, v117, v9                               // 000000004300: 26EA1375
	v_mov_b32_dpp v134, v118 row_shl:8 row_mask:0xf bank_mask:0xf bound_ctrl:1// 000000004304: 7F0C02FA FF090876
	v_and_b32_e32 v118, v118, v9                               // 00000000430C: 26EC1376
	v_mov_b32_dpp v135, v119 row_shl:8 row_mask:0xf bank_mask:0xf bound_ctrl:1// 000000004310: 7F0E02FA FF090877
	v_and_b32_e32 v119, v119, v9                               // 000000004318: 26EE1377
	v_mov_b32_dpp v136, v120 row_shl:8 row_mask:0xf bank_mask:0xf bound_ctrl:1// 00000000431C: 7F1002FA FF090878
	v_and_b32_e32 v120, v120, v9                               // 000000004324: 26F01378
	v_mov_b32_dpp v137, v121 row_shl:8 row_mask:0xf bank_mask:0xf bound_ctrl:1// 000000004328: 7F1202FA FF090879
	v_and_b32_e32 v121, v121, v9                               // 000000004330: 26F21379
	v_mov_b32_dpp v138, v122 row_shl:8 row_mask:0xf bank_mask:0xf bound_ctrl:1// 000000004334: 7F1402FA FF09087A
	v_and_b32_e32 v122, v122, v9                               // 00000000433C: 26F4137A
	v_mov_b32_dpp v139, v123 row_shl:8 row_mask:0xf bank_mask:0xf bound_ctrl:1// 000000004340: 7F1602FA FF09087B
	v_and_b32_e32 v123, v123, v9                               // 000000004348: 26F6137B
	v_mov_b32_dpp v140, v124 row_shl:8 row_mask:0xf bank_mask:0xf bound_ctrl:1// 00000000434C: 7F1802FA FF09087C
	v_and_b32_e32 v124, v124, v9                               // 000000004354: 26F8137C
	v_mov_b32_dpp v141, v125 row_shl:8 row_mask:0xf bank_mask:0xf bound_ctrl:1// 000000004358: 7F1A02FA FF09087D
	v_and_b32_e32 v125, v125, v9                               // 000000004360: 26FA137D
	v_mov_b32_dpp v142, v126 row_shl:8 row_mask:0xf bank_mask:0xf bound_ctrl:1// 000000004364: 7F1C02FA FF09087E
	v_and_b32_e32 v126, v126, v9                               // 00000000436C: 26FC137E
	v_mov_b32_dpp v143, v127 row_shl:8 row_mask:0xf bank_mask:0xf bound_ctrl:1// 000000004370: 7F1E02FA FF09087F
	v_and_b32_e32 v127, v127, v9                               // 000000004378: 26FE137F
	buffer_load_dwordx4 a[156:159], v199, s[20:23], 0 offen    // 00000000437C: E05C1000 80859CC7
	v_mul_f32_e32 v176, v51, v176                              // 000000004384: 0B616133
	v_mul_f32_e32 v177, v51, v177                              // 000000004388: 0B636333
	v_mul_f32_e32 v178, v51, v178                              // 00000000438C: 0B656533
	v_mul_f32_e32 v179, v51, v179                              // 000000004390: 0B676733
	v_mul_f32_e32 v180, v51, v180                              // 000000004394: 0B696933
	v_mul_f32_e32 v181, v51, v181                              // 000000004398: 0B6B6B33
	v_mul_f32_e32 v182, v51, v182                              // 00000000439C: 0B6D6D33
	v_mul_f32_e32 v183, v51, v183                              // 0000000043A0: 0B6F6F33
	s_waitcnt vmcnt(24)                                        // 0000000043A4: BF8C4F78
	v_mfma_f32_16x16x16_f16 v[176:179], a[192:193], v[112:113], v[176:179]// 0000000043A8: D3CD00B0 0EC2E1C0
	buffer_load_dwordx4 a[160:163], v192, s[20:23], 0 offen offset:1024// 0000000043B0: E05C1400 8085A0C0
	v_mfma_f32_16x16x16_f16 v[176:179], a[194:195], v[114:115], v[176:179]// 0000000043B8: D3CD00B0 0EC2E5C2
	v_mfma_f32_16x16x16_f16 v[176:179], a[196:197], v[116:117], v[176:179]// 0000000043C0: D3CD00B0 0EC2E9C4
	v_mfma_f32_16x16x16_f16 v[176:179], a[198:199], v[118:119], v[176:179]// 0000000043C8: D3CD00B0 0EC2EDC6
	v_mfma_f32_16x16x16_f16 v[176:179], a[200:201], v[120:121], v[176:179]// 0000000043D0: D3CD00B0 0EC2F1C8
	buffer_load_dwordx4 a[164:167], v193, s[20:23], 0 offen offset:1024// 0000000043D8: E05C1400 8085A4C1
	v_mfma_f32_16x16x16_f16 v[176:179], a[202:203], v[122:123], v[176:179]// 0000000043E0: D3CD00B0 0EC2F5CA
	v_mfma_f32_16x16x16_f16 v[176:179], a[204:205], v[124:125], v[176:179]// 0000000043E8: D3CD00B0 0EC2F9CC
	v_mfma_f32_16x16x16_f16 v[176:179], a[206:207], v[126:127], v[176:179]// 0000000043F0: D3CD00B0 0EC2FDCE
	v_mfma_f32_16x16x16_f16 v[176:179], a[208:209], v[128:129], v[176:179]// 0000000043F8: D3CD00B0 0EC301D0
	buffer_load_dwordx4 a[168:171], v194, s[20:23], 0 offen offset:1024// 000000004400: E05C1400 8085A8C2
	v_mfma_f32_16x16x16_f16 v[176:179], a[210:211], v[130:131], v[176:179]// 000000004408: D3CD00B0 0EC305D2
	v_mfma_f32_16x16x16_f16 v[176:179], a[212:213], v[132:133], v[176:179]// 000000004410: D3CD00B0 0EC309D4
	v_mfma_f32_16x16x16_f16 v[176:179], a[214:215], v[134:135], v[176:179]// 000000004418: D3CD00B0 0EC30DD6
	v_mfma_f32_16x16x16_f16 v[176:179], a[216:217], v[136:137], v[176:179]// 000000004420: D3CD00B0 0EC311D8
	buffer_load_dwordx4 a[172:175], v195, s[20:23], 0 offen offset:1024// 000000004428: E05C1400 8085ACC3
	v_mfma_f32_16x16x16_f16 v[176:179], a[218:219], v[138:139], v[176:179]// 000000004430: D3CD00B0 0EC315DA
	v_mfma_f32_16x16x16_f16 v[176:179], a[220:221], v[140:141], v[176:179]// 000000004438: D3CD00B0 0EC319DC
	v_mfma_f32_16x16x16_f16 v[176:179], a[222:223], v[142:143], v[176:179]// 000000004440: D3CD00B0 0EC31DDE
	v_mfma_f32_16x16x16_f16 v[180:183], a[224:225], v[112:113], v[180:183]// 000000004448: D3CD00B4 0ED2E1E0
	buffer_load_dwordx4 a[176:179], v196, s[20:23], 0 offen offset:1024// 000000004450: E05C1400 8085B0C4
	v_mfma_f32_16x16x16_f16 v[180:183], a[226:227], v[114:115], v[180:183]// 000000004458: D3CD00B4 0ED2E5E2
	v_mfma_f32_16x16x16_f16 v[180:183], a[228:229], v[116:117], v[180:183]// 000000004460: D3CD00B4 0ED2E9E4
	v_mfma_f32_16x16x16_f16 v[180:183], a[230:231], v[118:119], v[180:183]// 000000004468: D3CD00B4 0ED2EDE6
	v_mfma_f32_16x16x16_f16 v[180:183], a[232:233], v[120:121], v[180:183]// 000000004470: D3CD00B4 0ED2F1E8
	buffer_load_dwordx4 a[180:183], v197, s[20:23], 0 offen offset:1024// 000000004478: E05C1400 8085B4C5
	v_mfma_f32_16x16x16_f16 v[180:183], a[234:235], v[122:123], v[180:183]// 000000004480: D3CD00B4 0ED2F5EA
	v_mfma_f32_16x16x16_f16 v[180:183], a[236:237], v[124:125], v[180:183]// 000000004488: D3CD00B4 0ED2F9EC
	v_mfma_f32_16x16x16_f16 v[180:183], a[238:239], v[126:127], v[180:183]// 000000004490: D3CD00B4 0ED2FDEE
	v_mfma_f32_16x16x16_f16 v[180:183], a[240:241], v[128:129], v[180:183]// 000000004498: D3CD00B4 0ED301F0
	buffer_load_dwordx4 a[184:187], v198, s[20:23], 0 offen offset:1024// 0000000044A0: E05C1400 8085B8C6
	v_mfma_f32_16x16x16_f16 v[180:183], a[242:243], v[130:131], v[180:183]// 0000000044A8: D3CD00B4 0ED305F2
	v_mfma_f32_16x16x16_f16 v[180:183], a[244:245], v[132:133], v[180:183]// 0000000044B0: D3CD00B4 0ED309F4
	v_mfma_f32_16x16x16_f16 v[180:183], a[246:247], v[134:135], v[180:183]// 0000000044B8: D3CD00B4 0ED30DF6
	v_mfma_f32_16x16x16_f16 v[180:183], a[248:249], v[136:137], v[180:183]// 0000000044C0: D3CD00B4 0ED311F8
	buffer_load_dwordx4 a[188:191], v199, s[20:23], 0 offen offset:1024// 0000000044C8: E05C1400 8085BCC7
	v_mfma_f32_16x16x16_f16 v[180:183], a[250:251], v[138:139], v[180:183]// 0000000044D0: D3CD00B4 0ED315FA
	v_mfma_f32_16x16x16_f16 v[180:183], a[252:253], v[140:141], v[180:183]// 0000000044D8: D3CD00B4 0ED319FC
	v_mfma_f32_16x16x16_f16 v[180:183], a[254:255], v[142:143], v[180:183]// 0000000044E0: D3CD00B4 0ED31DFE
	s_lshr_b32 s60, s70, 4                                     // 0000000044E8: 8F3C8446
	s_add_u32 s60, 48, s60                                     // 0000000044EC: 803C3CB0
	s_cmp_ge_u32 s60, s73                                      // 0000000044F0: BF09493C
	s_cselect_b32 s56, 0, s56                                  // 0000000044F4: 85383880
	v_mul_u32_u24_dpp v39, v18, v54 row_newbcast:0 row_mask:0xf bank_mask:0xf// 0000000044F8: 104E6CFA FF015012
	v_mul_u32_u24_dpp v40, v18, v54 row_newbcast:4 row_mask:0xf bank_mask:0xf// 000000004500: 10506CFA FF015412
	v_mul_u32_u24_dpp v41, v18, v54 row_newbcast:8 row_mask:0xf bank_mask:0xf// 000000004508: 10526CFA FF015812
	v_mul_u32_u24_dpp v42, v18, v54 row_newbcast:12 row_mask:0xf bank_mask:0xf// 000000004510: 10546CFA FF015C12
	v_add_u32_e32 v27, v39, v6                                 // 000000004518: 68360D27
	v_add_u32_e32 v28, v40, v6                                 // 00000000451C: 68380D28
	v_add_u32_e32 v29, v41, v6                                 // 000000004520: 683A0D29
	v_add_u32_e32 v30, v42, v6                                 // 000000004524: 683C0D2A
	v_mul_u32_u24_dpp v39, v18, v54 row_newbcast:1 row_mask:0xf bank_mask:0xf// 000000004528: 104E6CFA FF015112
	v_mul_u32_u24_dpp v40, v18, v54 row_newbcast:2 row_mask:0xf bank_mask:0xf// 000000004530: 10506CFA FF015212
	v_mul_u32_u24_dpp v41, v18, v54 row_newbcast:5 row_mask:0xf bank_mask:0xf// 000000004538: 10526CFA FF015512
	v_mul_u32_u24_dpp v42, v18, v54 row_newbcast:6 row_mask:0xf bank_mask:0xf// 000000004540: 10546CFA FF015612
	v_add_u32_e32 v200, v39, v7                                // 000000004548: 69900F27
	v_add_u32_e32 v201, v40, v7                                // 00000000454C: 69920F28
	v_add_u32_e32 v202, v41, v7                                // 000000004550: 69940F29
	v_add_u32_e32 v203, v42, v7                                // 000000004554: 69960F2A
	v_mul_u32_u24_dpp v39, v18, v54 row_newbcast:9 row_mask:0xf bank_mask:0xf// 000000004558: 104E6CFA FF015912
	v_mul_u32_u24_dpp v40, v18, v54 row_newbcast:10 row_mask:0xf bank_mask:0xf// 000000004560: 10506CFA FF015A12
	v_mul_u32_u24_dpp v41, v18, v54 row_newbcast:13 row_mask:0xf bank_mask:0xf// 000000004568: 10526CFA FF015D12
	v_mul_u32_u24_dpp v42, v18, v54 row_newbcast:7 row_mask:0xf bank_mask:0xf// 000000004570: 10546CFA FF015712
	v_add_u32_e32 v204, v39, v7                                // 000000004578: 69980F27
	v_add_u32_e32 v205, v40, v7                                // 00000000457C: 699A0F28
	v_add_u32_e32 v206, v41, v7                                // 000000004580: 699C0F29
	v_add_u32_e32 v207, v42, v7                                // 000000004584: 699E0F2A
	v_add_u32_e32 v1, s56, v1                                  // 000000004588: 68020238
	s_addk_i32 s70, 0x100                                      // 00000000458C: B7460100
	s_cmp_lt_i32 s70, s71                                      // 000000004590: BF044746
	s_cbranch_scc0 label_054F                                  // 000000004594: BF84FC69
	s_branch label_0552                                        // 000000004598: BF82FC6B

000000000000459c <label_08E7>:
	s_lshr_b32 s60, s71, 4                                     // 00000000459C: 8F3C8447
	s_cmp_eq_i32 s60, s73                                      // 0000000045A0: BF00493C
	s_cbranch_scc1 label_0E03                                  // 0000000045A4: BF850518
	s_and_b32 s60, s72, 0xff                                   // 0000000045A8: 863CFF48 000000FF
	s_cmp_le_i32 s60, 64                                       // 0000000045B0: BF05C03C
	s_cbranch_scc0 label_0A67                                  // 0000000045B4: BF840178
	s_lshr_b32 s60, s71, 8                                     // 0000000045B8: 8F3C8847
	s_and_b32 s60, s60, 1                                      // 0000000045BC: 863C813C
	s_cmp_eq_i32 s60, 1                                        // 0000000045C0: BF00813C
	s_cbranch_scc1 label_09AC                                  // 0000000045C4: BF8500BA
	s_waitcnt vmcnt(16) lgkmcnt(0)                             // 0000000045C8: BF8C4070
	v_mfma_f32_16x16x16_f16 v[112:115], a[0:1], v[80:81], 0    // 0000000045CC: D3CD0070 0A02A100
	v_mfma_f32_16x16x16_f16 v[112:115], a[2:3], v[82:83], v[112:115]// 0000000045D4: D3CD0070 0DC2A502
	v_mfma_f32_16x16x16_f16 v[112:115], a[4:5], v[84:85], v[112:115]// 0000000045DC: D3CD0070 0DC2A904
	v_mfma_f32_16x16x16_f16 v[112:115], a[6:7], v[86:87], v[112:115]// 0000000045E4: D3CD0070 0DC2AD06
	v_mfma_f32_16x16x16_f16 v[112:115], a[8:9], v[88:89], v[112:115]// 0000000045EC: D3CD0070 0DC2B108
	v_mfma_f32_16x16x16_f16 v[112:115], a[10:11], v[90:91], v[112:115]// 0000000045F4: D3CD0070 0DC2B50A
	v_mfma_f32_16x16x16_f16 v[112:115], a[12:13], v[92:93], v[112:115]// 0000000045FC: D3CD0070 0DC2B90C
	v_mfma_f32_16x16x16_f16 v[112:115], a[14:15], v[94:95], v[112:115]// 000000004604: D3CD0070 0DC2BD0E
	s_and_b32 s60, s72, 0xff                                   // 00000000460C: 863CFF48 000000FF
	v_mov_b32_e32 v56, s60                                     // 000000004614: 7E70023C
	v_lshrrev_b32_e32 v31, 4, v0                               // 000000004618: 203E0084
	v_mul_i32_i24_e32 v31, 4, v31                              // 00000000461C: 0C3E3E84
	s_mul_i32 s60, s7, 16                                      // 000000004620: 923C9007
	v_add_u32_e32 v31, s60, v31                                // 000000004624: 683E3E3C
	v_add_u32_e32 v32, 1, v31                                  // 000000004628: 68403E81
	v_add_u32_e32 v33, 2, v31                                  // 00000000462C: 68423E82
	v_add_u32_e32 v34, 3, v31                                  // 000000004630: 68443E83
	v_and_b32_e32 v39, v55, v9                                 // 000000004634: 264E1337
	v_cmp_lt_u32_e64 s[40:41], v31, v56                        // 000000004638: D0C90028 0002711F
	v_add_u32_e32 v31, 64, v31                                 // 000000004640: 683E3EC0
	s_nop 0                                                    // 000000004644: BF800000
	v_cndmask_b32_e64 v112, v39, v112, s[40:41]                // 000000004648: D1000070 00A2E127
	v_cmp_lt_u32_e64 s[40:41], v32, v56                        // 000000004650: D0C90028 00027120
	v_add_u32_e32 v32, 64, v32                                 // 000000004658: 684040C0
	s_nop 0                                                    // 00000000465C: BF800000
	v_cndmask_b32_e64 v113, v39, v113, s[40:41]                // 000000004660: D1000071 00A2E327
	v_cmp_lt_u32_e64 s[40:41], v33, v56                        // 000000004668: D0C90028 00027121
	v_add_u32_e32 v33, 64, v33                                 // 000000004670: 684242C0
	s_nop 0                                                    // 000000004674: BF800000
	v_cndmask_b32_e64 v114, v39, v114, s[40:41]                // 000000004678: D1000072 00A2E527
	v_cmp_lt_u32_e64 s[40:41], v34, v56                        // 000000004680: D0C90028 00027122
	v_add_u32_e32 v34, 64, v34                                 // 000000004688: 684444C0
	s_nop 0                                                    // 00000000468C: BF800000
	v_cndmask_b32_e64 v115, v39, v115, s[40:41]                // 000000004690: D1000073 00A2E727
	s_nop 1                                                    // 000000004698: BF800001
	v_or_b32_dpp v112, v114, v112 row_shr:8 row_mask:0xf bank_mask:0xf bound_ctrl:1// 00000000469C: 28E0E0FA FF091872
	v_or_b32_dpp v113, v115, v113 row_shr:8 row_mask:0xf bank_mask:0xf bound_ctrl:1// 0000000046A4: 28E2E2FA FF091873
	v_max_f32_e32 v50, v112, v113                              // 0000000046AC: 1664E370
	ds_write_b32 v11, v50                                      // 0000000046B0: D81A0000 0000320B
	s_waitcnt lgkmcnt(0)                                       // 0000000046B8: BF8CC07F
	s_barrier                                                  // 0000000046BC: BF8A0000
	ds_read_b32 v64, v10                                       // 0000000046C0: D86C0000 4000000A
	ds_read_b32 v65, v10 offset:64                             // 0000000046C8: D86C0040 4100000A
	ds_read_b32 v66, v10 offset:128                            // 0000000046D0: D86C0080 4200000A
	ds_read_b32 v67, v10 offset:192                            // 0000000046D8: D86C00C0 4300000A
	ds_read_b32 v68, v10 offset:256                            // 0000000046E0: D86C0100 4400000A
	ds_read_b32 v69, v10 offset:320                            // 0000000046E8: D86C0140 4500000A
	ds_read_b32 v70, v10 offset:384                            // 0000000046F0: D86C0180 4600000A
	ds_read_b32 v71, v10 offset:448                            // 0000000046F8: D86C01C0 4700000A
	ds_read_b32 v72, v10 offset:512                            // 000000004700: D86C0200 4800000A
	ds_read_b32 v73, v10 offset:576                            // 000000004708: D86C0240 4900000A
	ds_read_b32 v74, v10 offset:640                            // 000000004710: D86C0280 4A00000A
	ds_read_b32 v75, v10 offset:704                            // 000000004718: D86C02C0 4B00000A
	ds_read_b32 v76, v10 offset:768                            // 000000004720: D86C0300 4C00000A
	ds_read_b32 v77, v10 offset:832                            // 000000004728: D86C0340 4D00000A
	ds_read_b32 v78, v10 offset:896                            // 000000004730: D86C0380 4E00000A
	ds_read_b32 v79, v10 offset:960                            // 000000004738: D86C03C0 4F00000A
	s_waitcnt lgkmcnt(0)                                       // 000000004740: BF8CC07F
	v_max3_f32 v50, v64, v65, v50                              // 000000004744: D1D30032 04CA8340
	v_max3_f32 v50, v66, v67, v50                              // 00000000474C: D1D30032 04CA8742
	v_max3_f32 v50, v68, v69, v50                              // 000000004754: D1D30032 04CA8B44
	v_max3_f32 v50, v70, v71, v50                              // 00000000475C: D1D30032 04CA8F46
	v_max3_f32 v50, v72, v73, v50                              // 000000004764: D1D30032 04CA9348
	v_max3_f32 v50, v74, v75, v50                              // 00000000476C: D1D30032 04CA974A
	v_max3_f32 v50, v76, v77, v50                              // 000000004774: D1D30032 04CA9B4C
	v_max3_f32 v50, v78, v79, v50                              // 00000000477C: D1D30032 04CA9F4E
	s_nop 1                                                    // 000000004784: BF800001
	v_mov_b32_dpp v39, v50 row_ror:8 row_mask:0xf bank_mask:0xf// 000000004788: 7E4E02FA FF012832
	v_max_f32_e32 v50, v50, v39                                // 000000004790: 16644F32
	v_max_f32_e32 v16, v50, v14                                // 000000004794: 16201D32
	v_sub_f32_e32 v51, v14, v16                                // 000000004798: 0466210E
	v_mov_b32_e32 v14, v16                                     // 00000000479C: 7E1C0310
	v_mul_f32_e32 v53, s64, v16                                // 0000000047A0: 0A6A2040
	v_mul_f32_e32 v51, s64, v51                                // 0000000047A4: 0A666640
	v_exp_f32_e32 v51, v51                                     // 0000000047A8: 7E664133
	v_fma_f32 v112, v112, s64, -v53                            // 0000000047AC: D1CB0070 84D48170
	v_fma_f32 v113, v113, s64, -v53                            // 0000000047B4: D1CB0071 84D48171
	v_exp_f32_e32 v112, v112                                   // 0000000047BC: 7EE04170
	v_exp_f32_e32 v113, v113                                   // 0000000047C0: 7EE24171
	v_mul_f32_e32 v43, v51, v43                                // 0000000047C4: 0A565733
	v_mov_b32_e32 v45, v112                                    // 0000000047C8: 7E5A0370
	v_add_f32_e32 v45, v113, v45                               // 0000000047CC: 025A5B71
	v_add_f32_e32 v43, v45, v43                                // 0000000047D0: 0256572D
	v_cvt_pkrtz_f16_f32 v39, v112, v113                        // 0000000047D4: D2960027 0002E370
	v_mov_b32_e32 v112, v39                                    // 0000000047DC: 7EE00327
	ds_write_b64 v13, v[112:113] offset:4096                   // 0000000047E0: D89A1000 0000700D
	s_waitcnt lgkmcnt(0)                                       // 0000000047E8: BF8CC07F
	s_barrier                                                  // 0000000047EC: BF8A0000
	ds_read_b64 v[112:113], v12 offset:4096                    // 0000000047F0: D8EC1000 7000000C
	ds_read_b64 v[114:115], v12 offset:4224                    // 0000000047F8: D8EC1080 7200000C
	ds_read_b64 v[116:117], v12 offset:5120                    // 000000004800: D8EC1400 7400000C
	ds_read_b64 v[118:119], v12 offset:5248                    // 000000004808: D8EC1480 7600000C
	s_waitcnt lgkmcnt(0)                                       // 000000004810: BF8CC07F
	v_mov_b32_dpp v113, v112 row_shl:8 row_mask:0xf bank_mask:0xf bound_ctrl:1// 000000004814: 7EE202FA FF090870
	v_and_b32_e32 v112, v112, v9                               // 00000000481C: 26E01370
	v_mov_b32_dpp v115, v114 row_shl:8 row_mask:0xf bank_mask:0xf bound_ctrl:1// 000000004820: 7EE602FA FF090872
	v_and_b32_e32 v114, v114, v9                               // 000000004828: 26E41372
	v_mov_b32_dpp v117, v116 row_shl:8 row_mask:0xf bank_mask:0xf bound_ctrl:1// 00000000482C: 7EEA02FA FF090874
	v_and_b32_e32 v116, v116, v9                               // 000000004834: 26E81374
	v_mov_b32_dpp v119, v118 row_shl:8 row_mask:0xf bank_mask:0xf bound_ctrl:1// 000000004838: 7EEE02FA FF090876
	v_and_b32_e32 v118, v118, v9                               // 000000004840: 26EC1376
	v_mul_f32_e32 v176, v51, v176                              // 000000004844: 0B616133
	v_mul_f32_e32 v177, v51, v177                              // 000000004848: 0B636333
	v_mul_f32_e32 v178, v51, v178                              // 00000000484C: 0B656533
	v_mul_f32_e32 v179, v51, v179                              // 000000004850: 0B676733
	v_mul_f32_e32 v180, v51, v180                              // 000000004854: 0B696933
	v_mul_f32_e32 v181, v51, v181                              // 000000004858: 0B6B6B33
	v_mul_f32_e32 v182, v51, v182                              // 00000000485C: 0B6D6D33
	v_mul_f32_e32 v183, v51, v183                              // 000000004860: 0B6F6F33
	s_waitcnt vmcnt(0)                                         // 000000004864: BF8C0F70
	v_mfma_f32_16x16x16_f16 v[176:179], a[128:129], v[112:113], v[176:179]// 000000004868: D3CD00B0 0EC2E180
	v_mfma_f32_16x16x16_f16 v[176:179], a[130:131], v[114:115], v[176:179]// 000000004870: D3CD00B0 0EC2E582
	v_mfma_f32_16x16x16_f16 v[176:179], a[132:133], v[116:117], v[176:179]// 000000004878: D3CD00B0 0EC2E984
	v_mfma_f32_16x16x16_f16 v[176:179], a[134:135], v[118:119], v[176:179]// 000000004880: D3CD00B0 0EC2ED86
	v_mfma_f32_16x16x16_f16 v[180:183], a[160:161], v[112:113], v[180:183]// 000000004888: D3CD00B4 0ED2E1A0
	v_mfma_f32_16x16x16_f16 v[180:183], a[162:163], v[114:115], v[180:183]// 000000004890: D3CD00B4 0ED2E5A2
	v_mfma_f32_16x16x16_f16 v[180:183], a[164:165], v[116:117], v[180:183]// 000000004898: D3CD00B4 0ED2E9A4
	v_mfma_f32_16x16x16_f16 v[180:183], a[166:167], v[118:119], v[180:183]// 0000000048A0: D3CD00B4 0ED2EDA6
	s_nop 8                                                    // 0000000048A8: BF800008
	s_branch label_0E03                                        // 0000000048AC: BF820456

00000000000048b0 <label_09AC>:
	s_waitcnt vmcnt(16) lgkmcnt(0)                             // 0000000048B0: BF8C4070
	v_mfma_f32_16x16x16_f16 v[112:115], a[64:65], v[80:81], 0  // 0000000048B4: D3CD0070 0A02A140
	v_mfma_f32_16x16x16_f16 v[112:115], a[66:67], v[82:83], v[112:115]// 0000000048BC: D3CD0070 0DC2A542
	v_mfma_f32_16x16x16_f16 v[112:115], a[68:69], v[84:85], v[112:115]// 0000000048C4: D3CD0070 0DC2A944
	v_mfma_f32_16x16x16_f16 v[112:115], a[70:71], v[86:87], v[112:115]// 0000000048CC: D3CD0070 0DC2AD46
	v_mfma_f32_16x16x16_f16 v[112:115], a[72:73], v[88:89], v[112:115]// 0000000048D4: D3CD0070 0DC2B148
	v_mfma_f32_16x16x16_f16 v[112:115], a[74:75], v[90:91], v[112:115]// 0000000048DC: D3CD0070 0DC2B54A
	v_mfma_f32_16x16x16_f16 v[112:115], a[76:77], v[92:93], v[112:115]// 0000000048E4: D3CD0070 0DC2B94C
	v_mfma_f32_16x16x16_f16 v[112:115], a[78:79], v[94:95], v[112:115]// 0000000048EC: D3CD0070 0DC2BD4E
	s_and_b32 s60, s72, 0xff                                   // 0000000048F4: 863CFF48 000000FF
	v_mov_b32_e32 v56, s60                                     // 0000000048FC: 7E70023C
	v_lshrrev_b32_e32 v31, 4, v0                               // 000000004900: 203E0084
	v_mul_i32_i24_e32 v31, 4, v31                              // 000000004904: 0C3E3E84
	s_mul_i32 s60, s7, 16                                      // 000000004908: 923C9007
	v_add_u32_e32 v31, s60, v31                                // 00000000490C: 683E3E3C
	v_add_u32_e32 v32, 1, v31                                  // 000000004910: 68403E81
	v_add_u32_e32 v33, 2, v31                                  // 000000004914: 68423E82
	v_add_u32_e32 v34, 3, v31                                  // 000000004918: 68443E83
	v_and_b32_e32 v39, v55, v9                                 // 00000000491C: 264E1337
	v_cmp_lt_u32_e64 s[40:41], v31, v56                        // 000000004920: D0C90028 0002711F
	v_add_u32_e32 v31, 64, v31                                 // 000000004928: 683E3EC0
	s_nop 0                                                    // 00000000492C: BF800000
	v_cndmask_b32_e64 v112, v39, v112, s[40:41]                // 000000004930: D1000070 00A2E127
	v_cmp_lt_u32_e64 s[40:41], v32, v56                        // 000000004938: D0C90028 00027120
	v_add_u32_e32 v32, 64, v32                                 // 000000004940: 684040C0
	s_nop 0                                                    // 000000004944: BF800000
	v_cndmask_b32_e64 v113, v39, v113, s[40:41]                // 000000004948: D1000071 00A2E327
	v_cmp_lt_u32_e64 s[40:41], v33, v56                        // 000000004950: D0C90028 00027121
	v_add_u32_e32 v33, 64, v33                                 // 000000004958: 684242C0
	s_nop 0                                                    // 00000000495C: BF800000
	v_cndmask_b32_e64 v114, v39, v114, s[40:41]                // 000000004960: D1000072 00A2E527
	v_cmp_lt_u32_e64 s[40:41], v34, v56                        // 000000004968: D0C90028 00027122
	v_add_u32_e32 v34, 64, v34                                 // 000000004970: 684444C0
	s_nop 0                                                    // 000000004974: BF800000
	v_cndmask_b32_e64 v115, v39, v115, s[40:41]                // 000000004978: D1000073 00A2E727
	s_nop 1                                                    // 000000004980: BF800001
	v_or_b32_dpp v112, v114, v112 row_shr:8 row_mask:0xf bank_mask:0xf bound_ctrl:1// 000000004984: 28E0E0FA FF091872
	v_or_b32_dpp v113, v115, v113 row_shr:8 row_mask:0xf bank_mask:0xf bound_ctrl:1// 00000000498C: 28E2E2FA FF091873
	v_max_f32_e32 v50, v112, v113                              // 000000004994: 1664E370
	ds_write_b32 v11, v50                                      // 000000004998: D81A0000 0000320B
	s_waitcnt lgkmcnt(0)                                       // 0000000049A0: BF8CC07F
	s_barrier                                                  // 0000000049A4: BF8A0000
	ds_read_b32 v64, v10                                       // 0000000049A8: D86C0000 4000000A
	ds_read_b32 v65, v10 offset:64                             // 0000000049B0: D86C0040 4100000A
	ds_read_b32 v66, v10 offset:128                            // 0000000049B8: D86C0080 4200000A
	ds_read_b32 v67, v10 offset:192                            // 0000000049C0: D86C00C0 4300000A
	ds_read_b32 v68, v10 offset:256                            // 0000000049C8: D86C0100 4400000A
	ds_read_b32 v69, v10 offset:320                            // 0000000049D0: D86C0140 4500000A
	ds_read_b32 v70, v10 offset:384                            // 0000000049D8: D86C0180 4600000A
	ds_read_b32 v71, v10 offset:448                            // 0000000049E0: D86C01C0 4700000A
	ds_read_b32 v72, v10 offset:512                            // 0000000049E8: D86C0200 4800000A
	ds_read_b32 v73, v10 offset:576                            // 0000000049F0: D86C0240 4900000A
	ds_read_b32 v74, v10 offset:640                            // 0000000049F8: D86C0280 4A00000A
	ds_read_b32 v75, v10 offset:704                            // 000000004A00: D86C02C0 4B00000A
	ds_read_b32 v76, v10 offset:768                            // 000000004A08: D86C0300 4C00000A
	ds_read_b32 v77, v10 offset:832                            // 000000004A10: D86C0340 4D00000A
	ds_read_b32 v78, v10 offset:896                            // 000000004A18: D86C0380 4E00000A
	ds_read_b32 v79, v10 offset:960                            // 000000004A20: D86C03C0 4F00000A
	s_waitcnt lgkmcnt(0)                                       // 000000004A28: BF8CC07F
	v_max3_f32 v50, v64, v65, v50                              // 000000004A2C: D1D30032 04CA8340
	v_max3_f32 v50, v66, v67, v50                              // 000000004A34: D1D30032 04CA8742
	v_max3_f32 v50, v68, v69, v50                              // 000000004A3C: D1D30032 04CA8B44
	v_max3_f32 v50, v70, v71, v50                              // 000000004A44: D1D30032 04CA8F46
	v_max3_f32 v50, v72, v73, v50                              // 000000004A4C: D1D30032 04CA9348
	v_max3_f32 v50, v74, v75, v50                              // 000000004A54: D1D30032 04CA974A
	v_max3_f32 v50, v76, v77, v50                              // 000000004A5C: D1D30032 04CA9B4C
	v_max3_f32 v50, v78, v79, v50                              // 000000004A64: D1D30032 04CA9F4E
	s_nop 1                                                    // 000000004A6C: BF800001
	v_mov_b32_dpp v39, v50 row_ror:8 row_mask:0xf bank_mask:0xf// 000000004A70: 7E4E02FA FF012832
	v_max_f32_e32 v50, v50, v39                                // 000000004A78: 16644F32
	v_max_f32_e32 v16, v50, v14                                // 000000004A7C: 16201D32
	v_sub_f32_e32 v51, v14, v16                                // 000000004A80: 0466210E
	v_mov_b32_e32 v14, v16                                     // 000000004A84: 7E1C0310
	v_mul_f32_e32 v53, s64, v16                                // 000000004A88: 0A6A2040
	v_mul_f32_e32 v51, s64, v51                                // 000000004A8C: 0A666640
	v_exp_f32_e32 v51, v51                                     // 000000004A90: 7E664133
	v_fma_f32 v112, v112, s64, -v53                            // 000000004A94: D1CB0070 84D48170
	v_fma_f32 v113, v113, s64, -v53                            // 000000004A9C: D1CB0071 84D48171
	v_exp_f32_e32 v112, v112                                   // 000000004AA4: 7EE04170
	v_exp_f32_e32 v113, v113                                   // 000000004AA8: 7EE24171
	v_mul_f32_e32 v43, v51, v43                                // 000000004AAC: 0A565733
	v_mov_b32_e32 v45, v112                                    // 000000004AB0: 7E5A0370
	v_add_f32_e32 v45, v113, v45                               // 000000004AB4: 025A5B71
	v_add_f32_e32 v43, v45, v43                                // 000000004AB8: 0256572D
	v_cvt_pkrtz_f16_f32 v39, v112, v113                        // 000000004ABC: D2960027 0002E370
	v_mov_b32_e32 v112, v39                                    // 000000004AC4: 7EE00327
	ds_write_b64 v13, v[112:113] offset:4096                   // 000000004AC8: D89A1000 0000700D
	s_waitcnt lgkmcnt(0)                                       // 000000004AD0: BF8CC07F
	s_barrier                                                  // 000000004AD4: BF8A0000
	ds_read_b64 v[112:113], v12 offset:4096                    // 000000004AD8: D8EC1000 7000000C
	ds_read_b64 v[114:115], v12 offset:4224                    // 000000004AE0: D8EC1080 7200000C
	ds_read_b64 v[116:117], v12 offset:5120                    // 000000004AE8: D8EC1400 7400000C
	ds_read_b64 v[118:119], v12 offset:5248                    // 000000004AF0: D8EC1480 7600000C
	s_waitcnt lgkmcnt(0)                                       // 000000004AF8: BF8CC07F
	v_mov_b32_dpp v113, v112 row_shl:8 row_mask:0xf bank_mask:0xf bound_ctrl:1// 000000004AFC: 7EE202FA FF090870
	v_and_b32_e32 v112, v112, v9                               // 000000004B04: 26E01370
	v_mov_b32_dpp v115, v114 row_shl:8 row_mask:0xf bank_mask:0xf bound_ctrl:1// 000000004B08: 7EE602FA FF090872
	v_and_b32_e32 v114, v114, v9                               // 000000004B10: 26E41372
	v_mov_b32_dpp v117, v116 row_shl:8 row_mask:0xf bank_mask:0xf bound_ctrl:1// 000000004B14: 7EEA02FA FF090874
	v_and_b32_e32 v116, v116, v9                               // 000000004B1C: 26E81374
	v_mov_b32_dpp v119, v118 row_shl:8 row_mask:0xf bank_mask:0xf bound_ctrl:1// 000000004B20: 7EEE02FA FF090876
	v_and_b32_e32 v118, v118, v9                               // 000000004B28: 26EC1376
	v_mul_f32_e32 v176, v51, v176                              // 000000004B2C: 0B616133
	v_mul_f32_e32 v177, v51, v177                              // 000000004B30: 0B636333
	v_mul_f32_e32 v178, v51, v178                              // 000000004B34: 0B656533
	v_mul_f32_e32 v179, v51, v179                              // 000000004B38: 0B676733
	v_mul_f32_e32 v180, v51, v180                              // 000000004B3C: 0B696933
	v_mul_f32_e32 v181, v51, v181                              // 000000004B40: 0B6B6B33
	v_mul_f32_e32 v182, v51, v182                              // 000000004B44: 0B6D6D33
	v_mul_f32_e32 v183, v51, v183                              // 000000004B48: 0B6F6F33
	s_waitcnt vmcnt(0)                                         // 000000004B4C: BF8C0F70
	v_mfma_f32_16x16x16_f16 v[176:179], a[192:193], v[112:113], v[176:179]// 000000004B50: D3CD00B0 0EC2E1C0
	v_mfma_f32_16x16x16_f16 v[176:179], a[194:195], v[114:115], v[176:179]// 000000004B58: D3CD00B0 0EC2E5C2
	v_mfma_f32_16x16x16_f16 v[176:179], a[196:197], v[116:117], v[176:179]// 000000004B60: D3CD00B0 0EC2E9C4
	v_mfma_f32_16x16x16_f16 v[176:179], a[198:199], v[118:119], v[176:179]// 000000004B68: D3CD00B0 0EC2EDC6
	v_mfma_f32_16x16x16_f16 v[180:183], a[224:225], v[112:113], v[180:183]// 000000004B70: D3CD00B4 0ED2E1E0
	v_mfma_f32_16x16x16_f16 v[180:183], a[226:227], v[114:115], v[180:183]// 000000004B78: D3CD00B4 0ED2E5E2
	v_mfma_f32_16x16x16_f16 v[180:183], a[228:229], v[116:117], v[180:183]// 000000004B80: D3CD00B4 0ED2E9E4
	v_mfma_f32_16x16x16_f16 v[180:183], a[230:231], v[118:119], v[180:183]// 000000004B88: D3CD00B4 0ED2EDE6
	s_nop 8                                                    // 000000004B90: BF800008
	s_branch label_0E03                                        // 000000004B94: BF82039C

0000000000004b98 <label_0A67>:
	s_lshr_b32 s60, s71, 8                                     // 000000004B98: 8F3C8847
	s_and_b32 s60, s60, 1                                      // 000000004B9C: 863C813C
	s_cmp_eq_i32 s60, 1                                        // 000000004BA0: BF00813C
	s_cbranch_scc1 label_0C37                                  // 000000004BA4: BF8501CC
	s_waitcnt vmcnt(16) lgkmcnt(0)                             // 000000004BA8: BF8C4070
	s_barrier                                                  // 000000004BAC: BF8A0000
	v_mfma_f32_16x16x16_f16 v[112:115], a[0:1], v[80:81], 0    // 000000004BB0: D3CD0070 0A02A100
	v_mfma_f32_16x16x16_f16 v[112:115], a[2:3], v[82:83], v[112:115]// 000000004BB8: D3CD0070 0DC2A502
	v_mfma_f32_16x16x16_f16 v[112:115], a[4:5], v[84:85], v[112:115]// 000000004BC0: D3CD0070 0DC2A904
	v_mfma_f32_16x16x16_f16 v[112:115], a[6:7], v[86:87], v[112:115]// 000000004BC8: D3CD0070 0DC2AD06
	v_mfma_f32_16x16x16_f16 v[112:115], a[8:9], v[88:89], v[112:115]// 000000004BD0: D3CD0070 0DC2B108
	v_mfma_f32_16x16x16_f16 v[112:115], a[10:11], v[90:91], v[112:115]// 000000004BD8: D3CD0070 0DC2B50A
	v_mfma_f32_16x16x16_f16 v[112:115], a[12:13], v[92:93], v[112:115]// 000000004BE0: D3CD0070 0DC2B90C
	v_mfma_f32_16x16x16_f16 v[112:115], a[14:15], v[94:95], v[112:115]// 000000004BE8: D3CD0070 0DC2BD0E
	v_mfma_f32_16x16x16_f16 v[116:119], a[16:17], v[80:81], 0  // 000000004BF0: D3CD0074 0A02A110
	v_mfma_f32_16x16x16_f16 v[116:119], a[18:19], v[82:83], v[116:119]// 000000004BF8: D3CD0074 0DD2A512
	v_mfma_f32_16x16x16_f16 v[116:119], a[20:21], v[84:85], v[116:119]// 000000004C00: D3CD0074 0DD2A914
	v_mfma_f32_16x16x16_f16 v[116:119], a[22:23], v[86:87], v[116:119]// 000000004C08: D3CD0074 0DD2AD16
	v_mfma_f32_16x16x16_f16 v[116:119], a[24:25], v[88:89], v[116:119]// 000000004C10: D3CD0074 0DD2B118
	v_mfma_f32_16x16x16_f16 v[116:119], a[26:27], v[90:91], v[116:119]// 000000004C18: D3CD0074 0DD2B51A
	v_mfma_f32_16x16x16_f16 v[116:119], a[28:29], v[92:93], v[116:119]// 000000004C20: D3CD0074 0DD2B91C
	v_mfma_f32_16x16x16_f16 v[116:119], a[30:31], v[94:95], v[116:119]// 000000004C28: D3CD0074 0DD2BD1E
	v_mfma_f32_16x16x16_f16 v[120:123], a[32:33], v[80:81], 0  // 000000004C30: D3CD0078 0A02A120
	v_mfma_f32_16x16x16_f16 v[120:123], a[34:35], v[82:83], v[120:123]// 000000004C38: D3CD0078 0DE2A522
	v_mfma_f32_16x16x16_f16 v[120:123], a[36:37], v[84:85], v[120:123]// 000000004C40: D3CD0078 0DE2A924
	v_mfma_f32_16x16x16_f16 v[120:123], a[38:39], v[86:87], v[120:123]// 000000004C48: D3CD0078 0DE2AD26
	v_mfma_f32_16x16x16_f16 v[120:123], a[40:41], v[88:89], v[120:123]// 000000004C50: D3CD0078 0DE2B128
	v_mfma_f32_16x16x16_f16 v[120:123], a[42:43], v[90:91], v[120:123]// 000000004C58: D3CD0078 0DE2B52A
	v_mfma_f32_16x16x16_f16 v[120:123], a[44:45], v[92:93], v[120:123]// 000000004C60: D3CD0078 0DE2B92C
	v_mfma_f32_16x16x16_f16 v[120:123], a[46:47], v[94:95], v[120:123]// 000000004C68: D3CD0078 0DE2BD2E
	v_mfma_f32_16x16x16_f16 v[124:127], a[48:49], v[80:81], 0  // 000000004C70: D3CD007C 0A02A130
	v_mfma_f32_16x16x16_f16 v[124:127], a[50:51], v[82:83], v[124:127]// 000000004C78: D3CD007C 0DF2A532
	v_mfma_f32_16x16x16_f16 v[124:127], a[52:53], v[84:85], v[124:127]// 000000004C80: D3CD007C 0DF2A934
	v_mfma_f32_16x16x16_f16 v[124:127], a[54:55], v[86:87], v[124:127]// 000000004C88: D3CD007C 0DF2AD36
	v_mfma_f32_16x16x16_f16 v[124:127], a[56:57], v[88:89], v[124:127]// 000000004C90: D3CD007C 0DF2B138
	v_mfma_f32_16x16x16_f16 v[124:127], a[58:59], v[90:91], v[124:127]// 000000004C98: D3CD007C 0DF2B53A
	v_mfma_f32_16x16x16_f16 v[124:127], a[60:61], v[92:93], v[124:127]// 000000004CA0: D3CD007C 0DF2B93C
	v_mfma_f32_16x16x16_f16 v[124:127], a[62:63], v[94:95], v[124:127]// 000000004CA8: D3CD007C 0DF2BD3E
	s_nop 8                                                    // 000000004CB0: BF800008
	s_and_b32 s60, s72, 0xff                                   // 000000004CB4: 863CFF48 000000FF
	v_mov_b32_e32 v56, s60                                     // 000000004CBC: 7E70023C
	v_lshrrev_b32_e32 v31, 4, v0                               // 000000004CC0: 203E0084
	v_mul_i32_i24_e32 v31, 4, v31                              // 000000004CC4: 0C3E3E84
	s_mul_i32 s60, s7, 16                                      // 000000004CC8: 923C9007
	v_add_u32_e32 v31, s60, v31                                // 000000004CCC: 683E3E3C
	v_add_u32_e32 v32, 1, v31                                  // 000000004CD0: 68403E81
	v_add_u32_e32 v33, 2, v31                                  // 000000004CD4: 68423E82
	v_add_u32_e32 v34, 3, v31                                  // 000000004CD8: 68443E83
	v_and_b32_e32 v39, v55, v9                                 // 000000004CDC: 264E1337
	v_cmp_lt_u32_e64 s[40:41], v31, v56                        // 000000004CE0: D0C90028 0002711F
	v_add_u32_e32 v31, 64, v31                                 // 000000004CE8: 683E3EC0
	s_nop 0                                                    // 000000004CEC: BF800000
	v_cndmask_b32_e64 v112, v39, v112, s[40:41]                // 000000004CF0: D1000070 00A2E127
	v_cmp_lt_u32_e64 s[40:41], v32, v56                        // 000000004CF8: D0C90028 00027120
	v_add_u32_e32 v32, 64, v32                                 // 000000004D00: 684040C0
	s_nop 0                                                    // 000000004D04: BF800000
	v_cndmask_b32_e64 v113, v39, v113, s[40:41]                // 000000004D08: D1000071 00A2E327
	v_cmp_lt_u32_e64 s[40:41], v33, v56                        // 000000004D10: D0C90028 00027121
	v_add_u32_e32 v33, 64, v33                                 // 000000004D18: 684242C0
	s_nop 0                                                    // 000000004D1C: BF800000
	v_cndmask_b32_e64 v114, v39, v114, s[40:41]                // 000000004D20: D1000072 00A2E527
	v_cmp_lt_u32_e64 s[40:41], v34, v56                        // 000000004D28: D0C90028 00027122
	v_add_u32_e32 v34, 64, v34                                 // 000000004D30: 684444C0
	s_nop 0                                                    // 000000004D34: BF800000
	v_cndmask_b32_e64 v115, v39, v115, s[40:41]                // 000000004D38: D1000073 00A2E727
	v_cmp_lt_u32_e64 s[40:41], v31, v56                        // 000000004D40: D0C90028 0002711F
	v_add_u32_e32 v31, 64, v31                                 // 000000004D48: 683E3EC0
	s_nop 0                                                    // 000000004D4C: BF800000
	v_cndmask_b32_e64 v116, v39, v116, s[40:41]                // 000000004D50: D1000074 00A2E927
	v_cmp_lt_u32_e64 s[40:41], v32, v56                        // 000000004D58: D0C90028 00027120
	v_add_u32_e32 v32, 64, v32                                 // 000000004D60: 684040C0
	s_nop 0                                                    // 000000004D64: BF800000
	v_cndmask_b32_e64 v117, v39, v117, s[40:41]                // 000000004D68: D1000075 00A2EB27
	v_cmp_lt_u32_e64 s[40:41], v33, v56                        // 000000004D70: D0C90028 00027121
	v_add_u32_e32 v33, 64, v33                                 // 000000004D78: 684242C0
	s_nop 0                                                    // 000000004D7C: BF800000
	v_cndmask_b32_e64 v118, v39, v118, s[40:41]                // 000000004D80: D1000076 00A2ED27
	v_cmp_lt_u32_e64 s[40:41], v34, v56                        // 000000004D88: D0C90028 00027122
	v_add_u32_e32 v34, 64, v34                                 // 000000004D90: 684444C0
	s_nop 0                                                    // 000000004D94: BF800000
	v_cndmask_b32_e64 v119, v39, v119, s[40:41]                // 000000004D98: D1000077 00A2EF27
	v_cmp_lt_u32_e64 s[40:41], v31, v56                        // 000000004DA0: D0C90028 0002711F
	v_add_u32_e32 v31, 64, v31                                 // 000000004DA8: 683E3EC0
	s_nop 0                                                    // 000000004DAC: BF800000
	v_cndmask_b32_e64 v120, v39, v120, s[40:41]                // 000000004DB0: D1000078 00A2F127
	v_cmp_lt_u32_e64 s[40:41], v32, v56                        // 000000004DB8: D0C90028 00027120
	v_add_u32_e32 v32, 64, v32                                 // 000000004DC0: 684040C0
	s_nop 0                                                    // 000000004DC4: BF800000
	v_cndmask_b32_e64 v121, v39, v121, s[40:41]                // 000000004DC8: D1000079 00A2F327
	v_cmp_lt_u32_e64 s[40:41], v33, v56                        // 000000004DD0: D0C90028 00027121
	v_add_u32_e32 v33, 64, v33                                 // 000000004DD8: 684242C0
	s_nop 0                                                    // 000000004DDC: BF800000
	v_cndmask_b32_e64 v122, v39, v122, s[40:41]                // 000000004DE0: D100007A 00A2F527
	v_cmp_lt_u32_e64 s[40:41], v34, v56                        // 000000004DE8: D0C90028 00027122
	v_add_u32_e32 v34, 64, v34                                 // 000000004DF0: 684444C0
	s_nop 0                                                    // 000000004DF4: BF800000
	v_cndmask_b32_e64 v123, v39, v123, s[40:41]                // 000000004DF8: D100007B 00A2F727
	v_cmp_lt_u32_e64 s[40:41], v31, v56                        // 000000004E00: D0C90028 0002711F
	v_add_u32_e32 v31, 64, v31                                 // 000000004E08: 683E3EC0
	s_nop 0                                                    // 000000004E0C: BF800000
	v_cndmask_b32_e64 v124, v39, v124, s[40:41]                // 000000004E10: D100007C 00A2F927
	v_cmp_lt_u32_e64 s[40:41], v32, v56                        // 000000004E18: D0C90028 00027120
	v_add_u32_e32 v32, 64, v32                                 // 000000004E20: 684040C0
	s_nop 0                                                    // 000000004E24: BF800000
	v_cndmask_b32_e64 v125, v39, v125, s[40:41]                // 000000004E28: D100007D 00A2FB27
	v_cmp_lt_u32_e64 s[40:41], v33, v56                        // 000000004E30: D0C90028 00027121
	v_add_u32_e32 v33, 64, v33                                 // 000000004E38: 684242C0
	s_nop 0                                                    // 000000004E3C: BF800000
	v_cndmask_b32_e64 v126, v39, v126, s[40:41]                // 000000004E40: D100007E 00A2FD27
	v_cmp_lt_u32_e64 s[40:41], v34, v56                        // 000000004E48: D0C90028 00027122
	v_add_u32_e32 v34, 64, v34                                 // 000000004E50: 684444C0
	s_nop 0                                                    // 000000004E54: BF800000
	v_cndmask_b32_e64 v127, v39, v127, s[40:41]                // 000000004E58: D100007F 00A2FF27
	s_nop 8                                                    // 000000004E60: BF800008
	v_or_b32_dpp v112, v120, v112 row_shr:8 row_mask:0xf bank_mask:0xf bound_ctrl:1// 000000004E64: 28E0E0FA FF091878
	v_or_b32_dpp v113, v121, v113 row_shr:8 row_mask:0xf bank_mask:0xf bound_ctrl:1// 000000004E6C: 28E2E2FA FF091879
	v_or_b32_dpp v114, v122, v114 row_shr:8 row_mask:0xf bank_mask:0xf bound_ctrl:1// 000000004E74: 28E4E4FA FF09187A
	v_or_b32_dpp v115, v123, v115 row_shr:8 row_mask:0xf bank_mask:0xf bound_ctrl:1// 000000004E7C: 28E6E6FA FF09187B
	v_or_b32_dpp v116, v124, v116 row_shr:8 row_mask:0xf bank_mask:0xf bound_ctrl:1// 000000004E84: 28E8E8FA FF09187C
	v_or_b32_dpp v117, v125, v117 row_shr:8 row_mask:0xf bank_mask:0xf bound_ctrl:1// 000000004E8C: 28EAEAFA FF09187D
	v_or_b32_dpp v118, v126, v118 row_shr:8 row_mask:0xf bank_mask:0xf bound_ctrl:1// 000000004E94: 28ECECFA FF09187E
	v_or_b32_dpp v119, v127, v119 row_shr:8 row_mask:0xf bank_mask:0xf bound_ctrl:1// 000000004E9C: 28EEEEFA FF09187F
	v_mov_b32_e32 v50, v112                                    // 000000004EA4: 7E640370
	v_max3_f32 v50, v112, v113, v50                            // 000000004EA8: D1D30032 04CAE370
	v_max3_f32 v50, v114, v115, v50                            // 000000004EB0: D1D30032 04CAE772
	v_max3_f32 v50, v116, v117, v50                            // 000000004EB8: D1D30032 04CAEB74
	v_max3_f32 v50, v118, v119, v50                            // 000000004EC0: D1D30032 04CAEF76
	ds_write_b32 v11, v50                                      // 000000004EC8: D81A0000 0000320B
	s_waitcnt lgkmcnt(0)                                       // 000000004ED0: BF8CC07F
	s_barrier                                                  // 000000004ED4: BF8A0000
	ds_read_b32 v64, v10                                       // 000000004ED8: D86C0000 4000000A
	ds_read_b32 v65, v10 offset:64                             // 000000004EE0: D86C0040 4100000A
	ds_read_b32 v66, v10 offset:128                            // 000000004EE8: D86C0080 4200000A
	ds_read_b32 v67, v10 offset:192                            // 000000004EF0: D86C00C0 4300000A
	ds_read_b32 v68, v10 offset:256                            // 000000004EF8: D86C0100 4400000A
	ds_read_b32 v69, v10 offset:320                            // 000000004F00: D86C0140 4500000A
	ds_read_b32 v70, v10 offset:384                            // 000000004F08: D86C0180 4600000A
	ds_read_b32 v71, v10 offset:448                            // 000000004F10: D86C01C0 4700000A
	ds_read_b32 v72, v10 offset:512                            // 000000004F18: D86C0200 4800000A
	ds_read_b32 v73, v10 offset:576                            // 000000004F20: D86C0240 4900000A
	ds_read_b32 v74, v10 offset:640                            // 000000004F28: D86C0280 4A00000A
	ds_read_b32 v75, v10 offset:704                            // 000000004F30: D86C02C0 4B00000A
	ds_read_b32 v76, v10 offset:768                            // 000000004F38: D86C0300 4C00000A
	ds_read_b32 v77, v10 offset:832                            // 000000004F40: D86C0340 4D00000A
	ds_read_b32 v78, v10 offset:896                            // 000000004F48: D86C0380 4E00000A
	ds_read_b32 v79, v10 offset:960                            // 000000004F50: D86C03C0 4F00000A
	s_waitcnt lgkmcnt(0)                                       // 000000004F58: BF8CC07F
	v_max3_f32 v50, v64, v65, v50                              // 000000004F5C: D1D30032 04CA8340
	v_max3_f32 v50, v66, v67, v50                              // 000000004F64: D1D30032 04CA8742
	v_max3_f32 v50, v68, v69, v50                              // 000000004F6C: D1D30032 04CA8B44
	v_max3_f32 v50, v70, v71, v50                              // 000000004F74: D1D30032 04CA8F46
	v_max3_f32 v50, v72, v73, v50                              // 000000004F7C: D1D30032 04CA9348
	v_max3_f32 v50, v74, v75, v50                              // 000000004F84: D1D30032 04CA974A
	v_max3_f32 v50, v76, v77, v50                              // 000000004F8C: D1D30032 04CA9B4C
	v_max3_f32 v50, v78, v79, v50                              // 000000004F94: D1D30032 04CA9F4E
	v_cmp_eq_u32_e64 s[40:41], v55, v14                        // 000000004F9C: D0CA0028 00021D37
	s_nop 1                                                    // 000000004FA4: BF800001
	v_mov_b32_dpp v39, v50 row_ror:8 row_mask:0xf bank_mask:0xf// 000000004FA8: 7E4E02FA FF012832
	v_max_f32_e32 v50, v50, v39                                // 000000004FB0: 16644F32
	v_max_f32_e32 v16, v50, v14                                // 000000004FB4: 16201D32
	v_sub_f32_e32 v51, v14, v16                                // 000000004FB8: 0466210E
	v_cndmask_b32_e64 v51, v51, 0, s[40:41]                    // 000000004FBC: D1000033 00A10133
	v_mov_b32_e32 v14, v16                                     // 000000004FC4: 7E1C0310
	v_mul_f32_e32 v53, s64, v16                                // 000000004FC8: 0A6A2040
	v_mul_f32_e32 v51, s64, v51                                // 000000004FCC: 0A666640
	v_exp_f32_e32 v51, v51                                     // 000000004FD0: 7E664133
	v_fma_f32 v112, v112, s64, -v53                            // 000000004FD4: D1CB0070 84D48170
	v_fma_f32 v113, v113, s64, -v53                            // 000000004FDC: D1CB0071 84D48171
	v_fma_f32 v114, v114, s64, -v53                            // 000000004FE4: D1CB0072 84D48172
	v_fma_f32 v115, v115, s64, -v53                            // 000000004FEC: D1CB0073 84D48173
	v_fma_f32 v116, v116, s64, -v53                            // 000000004FF4: D1CB0074 84D48174
	v_fma_f32 v117, v117, s64, -v53                            // 000000004FFC: D1CB0075 84D48175
	v_fma_f32 v118, v118, s64, -v53                            // 000000005004: D1CB0076 84D48176
	v_fma_f32 v119, v119, s64, -v53                            // 00000000500C: D1CB0077 84D48177
	v_exp_f32_e32 v112, v112                                   // 000000005014: 7EE04170
	v_exp_f32_e32 v113, v113                                   // 000000005018: 7EE24171
	v_exp_f32_e32 v114, v114                                   // 00000000501C: 7EE44172
	v_exp_f32_e32 v115, v115                                   // 000000005020: 7EE64173
	v_exp_f32_e32 v116, v116                                   // 000000005024: 7EE84174
	v_exp_f32_e32 v117, v117                                   // 000000005028: 7EEA4175
	v_exp_f32_e32 v118, v118                                   // 00000000502C: 7EEC4176
	v_exp_f32_e32 v119, v119                                   // 000000005030: 7EEE4177
	v_mul_f32_e32 v43, v51, v43                                // 000000005034: 0A565733
	v_mov_b32_e32 v45, v112                                    // 000000005038: 7E5A0370
	v_add_f32_e32 v45, v113, v45                               // 00000000503C: 025A5B71
	v_add_f32_e32 v45, v114, v45                               // 000000005040: 025A5B72
	v_add_f32_e32 v45, v115, v45                               // 000000005044: 025A5B73
	v_add_f32_e32 v45, v116, v45                               // 000000005048: 025A5B74
	v_add_f32_e32 v45, v117, v45                               // 00000000504C: 025A5B75
	v_add_f32_e32 v45, v118, v45                               // 000000005050: 025A5B76
	v_add_f32_e32 v45, v119, v45                               // 000000005054: 025A5B77
	v_add_f32_e32 v43, v45, v43                                // 000000005058: 0256572D
	v_cvt_pkrtz_f16_f32 v39, v112, v113                        // 00000000505C: D2960027 0002E370
	v_mov_b32_e32 v112, v39                                    // 000000005064: 7EE00327
	v_cvt_pkrtz_f16_f32 v39, v114, v115                        // 000000005068: D2960027 0002E772
	v_mov_b32_e32 v113, v39                                    // 000000005070: 7EE20327
	v_cvt_pkrtz_f16_f32 v39, v116, v117                        // 000000005074: D2960027 0002EB74
	v_mov_b32_e32 v114, v39                                    // 00000000507C: 7EE40327
	v_cvt_pkrtz_f16_f32 v39, v118, v119                        // 000000005080: D2960027 0002EF76
	v_mov_b32_e32 v115, v39                                    // 000000005088: 7EE60327
	ds_write_b64 v13, v[112:113] offset:4096                   // 00000000508C: D89A1000 0000700D
	ds_write_b64 v13, v[114:115] offset:6144                   // 000000005094: D89A1800 0000720D
	s_waitcnt lgkmcnt(0)                                       // 00000000509C: BF8CC07F
	s_barrier                                                  // 0000000050A0: BF8A0000
	ds_read_b64 v[112:113], v12 offset:4096                    // 0000000050A4: D8EC1000 7000000C
	ds_read_b64 v[114:115], v12 offset:4224                    // 0000000050AC: D8EC1080 7200000C
	ds_read_b64 v[116:117], v12 offset:5120                    // 0000000050B4: D8EC1400 7400000C
	ds_read_b64 v[118:119], v12 offset:5248                    // 0000000050BC: D8EC1480 7600000C
	ds_read_b64 v[120:121], v12 offset:6144                    // 0000000050C4: D8EC1800 7800000C
	ds_read_b64 v[122:123], v12 offset:6272                    // 0000000050CC: D8EC1880 7A00000C
	ds_read_b64 v[124:125], v12 offset:7168                    // 0000000050D4: D8EC1C00 7C00000C
	ds_read_b64 v[126:127], v12 offset:7296                    // 0000000050DC: D8EC1C80 7E00000C
	s_waitcnt lgkmcnt(0)                                       // 0000000050E4: BF8CC07F
	v_mov_b32_dpp v128, v112 row_shl:8 row_mask:0xf bank_mask:0xf bound_ctrl:1// 0000000050E8: 7F0002FA FF090870
	v_and_b32_e32 v112, v112, v9                               // 0000000050F0: 26E01370
	v_mov_b32_dpp v129, v113 row_shl:8 row_mask:0xf bank_mask:0xf bound_ctrl:1// 0000000050F4: 7F0202FA FF090871
	v_and_b32_e32 v113, v113, v9                               // 0000000050FC: 26E21371
	v_mov_b32_dpp v130, v114 row_shl:8 row_mask:0xf bank_mask:0xf bound_ctrl:1// 000000005100: 7F0402FA FF090872
	v_and_b32_e32 v114, v114, v9                               // 000000005108: 26E41372
	v_mov_b32_dpp v131, v115 row_shl:8 row_mask:0xf bank_mask:0xf bound_ctrl:1// 00000000510C: 7F0602FA FF090873
	v_and_b32_e32 v115, v115, v9                               // 000000005114: 26E61373
	v_mov_b32_dpp v132, v116 row_shl:8 row_mask:0xf bank_mask:0xf bound_ctrl:1// 000000005118: 7F0802FA FF090874
	v_and_b32_e32 v116, v116, v9                               // 000000005120: 26E81374
	v_mov_b32_dpp v133, v117 row_shl:8 row_mask:0xf bank_mask:0xf bound_ctrl:1// 000000005124: 7F0A02FA FF090875
	v_and_b32_e32 v117, v117, v9                               // 00000000512C: 26EA1375
	v_mov_b32_dpp v134, v118 row_shl:8 row_mask:0xf bank_mask:0xf bound_ctrl:1// 000000005130: 7F0C02FA FF090876
	v_and_b32_e32 v118, v118, v9                               // 000000005138: 26EC1376
	v_mov_b32_dpp v135, v119 row_shl:8 row_mask:0xf bank_mask:0xf bound_ctrl:1// 00000000513C: 7F0E02FA FF090877
	v_and_b32_e32 v119, v119, v9                               // 000000005144: 26EE1377
	v_mov_b32_dpp v136, v120 row_shl:8 row_mask:0xf bank_mask:0xf bound_ctrl:1// 000000005148: 7F1002FA FF090878
	v_and_b32_e32 v120, v120, v9                               // 000000005150: 26F01378
	v_mov_b32_dpp v137, v121 row_shl:8 row_mask:0xf bank_mask:0xf bound_ctrl:1// 000000005154: 7F1202FA FF090879
	v_and_b32_e32 v121, v121, v9                               // 00000000515C: 26F21379
	v_mov_b32_dpp v138, v122 row_shl:8 row_mask:0xf bank_mask:0xf bound_ctrl:1// 000000005160: 7F1402FA FF09087A
	v_and_b32_e32 v122, v122, v9                               // 000000005168: 26F4137A
	v_mov_b32_dpp v139, v123 row_shl:8 row_mask:0xf bank_mask:0xf bound_ctrl:1// 00000000516C: 7F1602FA FF09087B
	v_and_b32_e32 v123, v123, v9                               // 000000005174: 26F6137B
	v_mov_b32_dpp v140, v124 row_shl:8 row_mask:0xf bank_mask:0xf bound_ctrl:1// 000000005178: 7F1802FA FF09087C
	v_and_b32_e32 v124, v124, v9                               // 000000005180: 26F8137C
	v_mov_b32_dpp v141, v125 row_shl:8 row_mask:0xf bank_mask:0xf bound_ctrl:1// 000000005184: 7F1A02FA FF09087D
	v_and_b32_e32 v125, v125, v9                               // 00000000518C: 26FA137D
	v_mov_b32_dpp v142, v126 row_shl:8 row_mask:0xf bank_mask:0xf bound_ctrl:1// 000000005190: 7F1C02FA FF09087E
	v_and_b32_e32 v126, v126, v9                               // 000000005198: 26FC137E
	v_mov_b32_dpp v143, v127 row_shl:8 row_mask:0xf bank_mask:0xf bound_ctrl:1// 00000000519C: 7F1E02FA FF09087F
	v_and_b32_e32 v127, v127, v9                               // 0000000051A4: 26FE137F
	v_mul_f32_e32 v176, v51, v176                              // 0000000051A8: 0B616133
	v_mul_f32_e32 v177, v51, v177                              // 0000000051AC: 0B636333
	v_mul_f32_e32 v178, v51, v178                              // 0000000051B0: 0B656533
	v_mul_f32_e32 v179, v51, v179                              // 0000000051B4: 0B676733
	v_mul_f32_e32 v180, v51, v180                              // 0000000051B8: 0B696933
	v_mul_f32_e32 v181, v51, v181                              // 0000000051BC: 0B6B6B33
	v_mul_f32_e32 v182, v51, v182                              // 0000000051C0: 0B6D6D33
	v_mul_f32_e32 v183, v51, v183                              // 0000000051C4: 0B6F6F33
	s_waitcnt vmcnt(0)                                         // 0000000051C8: BF8C0F70
	s_barrier                                                  // 0000000051CC: BF8A0000
	v_mfma_f32_16x16x16_f16 v[176:179], a[128:129], v[112:113], v[176:179]// 0000000051D0: D3CD00B0 0EC2E180
	v_mfma_f32_16x16x16_f16 v[176:179], a[130:131], v[114:115], v[176:179]// 0000000051D8: D3CD00B0 0EC2E582
	v_mfma_f32_16x16x16_f16 v[176:179], a[132:133], v[116:117], v[176:179]// 0000000051E0: D3CD00B0 0EC2E984
	v_mfma_f32_16x16x16_f16 v[176:179], a[134:135], v[118:119], v[176:179]// 0000000051E8: D3CD00B0 0EC2ED86
	v_mfma_f32_16x16x16_f16 v[176:179], a[136:137], v[120:121], v[176:179]// 0000000051F0: D3CD00B0 0EC2F188
	v_mfma_f32_16x16x16_f16 v[176:179], a[138:139], v[122:123], v[176:179]// 0000000051F8: D3CD00B0 0EC2F58A
	v_mfma_f32_16x16x16_f16 v[176:179], a[140:141], v[124:125], v[176:179]// 000000005200: D3CD00B0 0EC2F98C
	v_mfma_f32_16x16x16_f16 v[176:179], a[142:143], v[126:127], v[176:179]// 000000005208: D3CD00B0 0EC2FD8E
	v_mfma_f32_16x16x16_f16 v[176:179], a[144:145], v[128:129], v[176:179]// 000000005210: D3CD00B0 0EC30190
	v_mfma_f32_16x16x16_f16 v[176:179], a[146:147], v[130:131], v[176:179]// 000000005218: D3CD00B0 0EC30592
	v_mfma_f32_16x16x16_f16 v[176:179], a[148:149], v[132:133], v[176:179]// 000000005220: D3CD00B0 0EC30994
	v_mfma_f32_16x16x16_f16 v[176:179], a[150:151], v[134:135], v[176:179]// 000000005228: D3CD00B0 0EC30D96
	v_mfma_f32_16x16x16_f16 v[176:179], a[152:153], v[136:137], v[176:179]// 000000005230: D3CD00B0 0EC31198
	v_mfma_f32_16x16x16_f16 v[176:179], a[154:155], v[138:139], v[176:179]// 000000005238: D3CD00B0 0EC3159A
	v_mfma_f32_16x16x16_f16 v[176:179], a[156:157], v[140:141], v[176:179]// 000000005240: D3CD00B0 0EC3199C
	v_mfma_f32_16x16x16_f16 v[176:179], a[158:159], v[142:143], v[176:179]// 000000005248: D3CD00B0 0EC31D9E
	v_mfma_f32_16x16x16_f16 v[180:183], a[160:161], v[112:113], v[180:183]// 000000005250: D3CD00B4 0ED2E1A0
	v_mfma_f32_16x16x16_f16 v[180:183], a[162:163], v[114:115], v[180:183]// 000000005258: D3CD00B4 0ED2E5A2
	v_mfma_f32_16x16x16_f16 v[180:183], a[164:165], v[116:117], v[180:183]// 000000005260: D3CD00B4 0ED2E9A4
	v_mfma_f32_16x16x16_f16 v[180:183], a[166:167], v[118:119], v[180:183]// 000000005268: D3CD00B4 0ED2EDA6
	v_mfma_f32_16x16x16_f16 v[180:183], a[168:169], v[120:121], v[180:183]// 000000005270: D3CD00B4 0ED2F1A8
	v_mfma_f32_16x16x16_f16 v[180:183], a[170:171], v[122:123], v[180:183]// 000000005278: D3CD00B4 0ED2F5AA
	v_mfma_f32_16x16x16_f16 v[180:183], a[172:173], v[124:125], v[180:183]// 000000005280: D3CD00B4 0ED2F9AC
	v_mfma_f32_16x16x16_f16 v[180:183], a[174:175], v[126:127], v[180:183]// 000000005288: D3CD00B4 0ED2FDAE
	v_mfma_f32_16x16x16_f16 v[180:183], a[176:177], v[128:129], v[180:183]// 000000005290: D3CD00B4 0ED301B0
	v_mfma_f32_16x16x16_f16 v[180:183], a[178:179], v[130:131], v[180:183]// 000000005298: D3CD00B4 0ED305B2
	v_mfma_f32_16x16x16_f16 v[180:183], a[180:181], v[132:133], v[180:183]// 0000000052A0: D3CD00B4 0ED309B4
	v_mfma_f32_16x16x16_f16 v[180:183], a[182:183], v[134:135], v[180:183]// 0000000052A8: D3CD00B4 0ED30DB6
	v_mfma_f32_16x16x16_f16 v[180:183], a[184:185], v[136:137], v[180:183]// 0000000052B0: D3CD00B4 0ED311B8
	v_mfma_f32_16x16x16_f16 v[180:183], a[186:187], v[138:139], v[180:183]// 0000000052B8: D3CD00B4 0ED315BA
	v_mfma_f32_16x16x16_f16 v[180:183], a[188:189], v[140:141], v[180:183]// 0000000052C0: D3CD00B4 0ED319BC
	v_mfma_f32_16x16x16_f16 v[180:183], a[190:191], v[142:143], v[180:183]// 0000000052C8: D3CD00B4 0ED31DBE
	s_nop 8                                                    // 0000000052D0: BF800008
	s_branch label_0E03                                        // 0000000052D4: BF8201CC

00000000000052d8 <label_0C37>:
	s_waitcnt vmcnt(16) lgkmcnt(0)                             // 0000000052D8: BF8C4070
	s_barrier                                                  // 0000000052DC: BF8A0000
	v_mfma_f32_16x16x16_f16 v[112:115], a[64:65], v[80:81], 0  // 0000000052E0: D3CD0070 0A02A140
	v_mfma_f32_16x16x16_f16 v[112:115], a[66:67], v[82:83], v[112:115]// 0000000052E8: D3CD0070 0DC2A542
	v_mfma_f32_16x16x16_f16 v[112:115], a[68:69], v[84:85], v[112:115]// 0000000052F0: D3CD0070 0DC2A944
	v_mfma_f32_16x16x16_f16 v[112:115], a[70:71], v[86:87], v[112:115]// 0000000052F8: D3CD0070 0DC2AD46
	v_mfma_f32_16x16x16_f16 v[112:115], a[72:73], v[88:89], v[112:115]// 000000005300: D3CD0070 0DC2B148
	v_mfma_f32_16x16x16_f16 v[112:115], a[74:75], v[90:91], v[112:115]// 000000005308: D3CD0070 0DC2B54A
	v_mfma_f32_16x16x16_f16 v[112:115], a[76:77], v[92:93], v[112:115]// 000000005310: D3CD0070 0DC2B94C
	v_mfma_f32_16x16x16_f16 v[112:115], a[78:79], v[94:95], v[112:115]// 000000005318: D3CD0070 0DC2BD4E
	v_mfma_f32_16x16x16_f16 v[116:119], a[80:81], v[80:81], 0  // 000000005320: D3CD0074 0A02A150
	v_mfma_f32_16x16x16_f16 v[116:119], a[82:83], v[82:83], v[116:119]// 000000005328: D3CD0074 0DD2A552
	v_mfma_f32_16x16x16_f16 v[116:119], a[84:85], v[84:85], v[116:119]// 000000005330: D3CD0074 0DD2A954
	v_mfma_f32_16x16x16_f16 v[116:119], a[86:87], v[86:87], v[116:119]// 000000005338: D3CD0074 0DD2AD56
	v_mfma_f32_16x16x16_f16 v[116:119], a[88:89], v[88:89], v[116:119]// 000000005340: D3CD0074 0DD2B158
	v_mfma_f32_16x16x16_f16 v[116:119], a[90:91], v[90:91], v[116:119]// 000000005348: D3CD0074 0DD2B55A
	v_mfma_f32_16x16x16_f16 v[116:119], a[92:93], v[92:93], v[116:119]// 000000005350: D3CD0074 0DD2B95C
	v_mfma_f32_16x16x16_f16 v[116:119], a[94:95], v[94:95], v[116:119]// 000000005358: D3CD0074 0DD2BD5E
	v_mfma_f32_16x16x16_f16 v[120:123], a[96:97], v[80:81], 0  // 000000005360: D3CD0078 0A02A160
	v_mfma_f32_16x16x16_f16 v[120:123], a[98:99], v[82:83], v[120:123]// 000000005368: D3CD0078 0DE2A562
	v_mfma_f32_16x16x16_f16 v[120:123], a[100:101], v[84:85], v[120:123]// 000000005370: D3CD0078 0DE2A964
	v_mfma_f32_16x16x16_f16 v[120:123], a[102:103], v[86:87], v[120:123]// 000000005378: D3CD0078 0DE2AD66
	v_mfma_f32_16x16x16_f16 v[120:123], a[104:105], v[88:89], v[120:123]// 000000005380: D3CD0078 0DE2B168
	v_mfma_f32_16x16x16_f16 v[120:123], a[106:107], v[90:91], v[120:123]// 000000005388: D3CD0078 0DE2B56A
	v_mfma_f32_16x16x16_f16 v[120:123], a[108:109], v[92:93], v[120:123]// 000000005390: D3CD0078 0DE2B96C
	v_mfma_f32_16x16x16_f16 v[120:123], a[110:111], v[94:95], v[120:123]// 000000005398: D3CD0078 0DE2BD6E
	v_mfma_f32_16x16x16_f16 v[124:127], a[112:113], v[80:81], 0// 0000000053A0: D3CD007C 0A02A170
	v_mfma_f32_16x16x16_f16 v[124:127], a[114:115], v[82:83], v[124:127]// 0000000053A8: D3CD007C 0DF2A572
	v_mfma_f32_16x16x16_f16 v[124:127], a[116:117], v[84:85], v[124:127]// 0000000053B0: D3CD007C 0DF2A974
	v_mfma_f32_16x16x16_f16 v[124:127], a[118:119], v[86:87], v[124:127]// 0000000053B8: D3CD007C 0DF2AD76
	v_mfma_f32_16x16x16_f16 v[124:127], a[120:121], v[88:89], v[124:127]// 0000000053C0: D3CD007C 0DF2B178
	v_mfma_f32_16x16x16_f16 v[124:127], a[122:123], v[90:91], v[124:127]// 0000000053C8: D3CD007C 0DF2B57A
	v_mfma_f32_16x16x16_f16 v[124:127], a[124:125], v[92:93], v[124:127]// 0000000053D0: D3CD007C 0DF2B97C
	v_mfma_f32_16x16x16_f16 v[124:127], a[126:127], v[94:95], v[124:127]// 0000000053D8: D3CD007C 0DF2BD7E
	s_nop 8                                                    // 0000000053E0: BF800008
	s_and_b32 s60, s72, 0xff                                   // 0000000053E4: 863CFF48 000000FF
	v_mov_b32_e32 v56, s60                                     // 0000000053EC: 7E70023C
	v_lshrrev_b32_e32 v31, 4, v0                               // 0000000053F0: 203E0084
	v_mul_i32_i24_e32 v31, 4, v31                              // 0000000053F4: 0C3E3E84
	s_mul_i32 s60, s7, 16                                      // 0000000053F8: 923C9007
	v_add_u32_e32 v31, s60, v31                                // 0000000053FC: 683E3E3C
	v_add_u32_e32 v32, 1, v31                                  // 000000005400: 68403E81
	v_add_u32_e32 v33, 2, v31                                  // 000000005404: 68423E82
	v_add_u32_e32 v34, 3, v31                                  // 000000005408: 68443E83
	v_and_b32_e32 v39, v55, v9                                 // 00000000540C: 264E1337
	v_cmp_lt_u32_e64 s[40:41], v31, v56                        // 000000005410: D0C90028 0002711F
	v_add_u32_e32 v31, 64, v31                                 // 000000005418: 683E3EC0
	s_nop 0                                                    // 00000000541C: BF800000
	v_cndmask_b32_e64 v112, v39, v112, s[40:41]                // 000000005420: D1000070 00A2E127
	v_cmp_lt_u32_e64 s[40:41], v32, v56                        // 000000005428: D0C90028 00027120
	v_add_u32_e32 v32, 64, v32                                 // 000000005430: 684040C0
	s_nop 0                                                    // 000000005434: BF800000
	v_cndmask_b32_e64 v113, v39, v113, s[40:41]                // 000000005438: D1000071 00A2E327
	v_cmp_lt_u32_e64 s[40:41], v33, v56                        // 000000005440: D0C90028 00027121
	v_add_u32_e32 v33, 64, v33                                 // 000000005448: 684242C0
	s_nop 0                                                    // 00000000544C: BF800000
	v_cndmask_b32_e64 v114, v39, v114, s[40:41]                // 000000005450: D1000072 00A2E527
	v_cmp_lt_u32_e64 s[40:41], v34, v56                        // 000000005458: D0C90028 00027122
	v_add_u32_e32 v34, 64, v34                                 // 000000005460: 684444C0
	s_nop 0                                                    // 000000005464: BF800000
	v_cndmask_b32_e64 v115, v39, v115, s[40:41]                // 000000005468: D1000073 00A2E727
	v_cmp_lt_u32_e64 s[40:41], v31, v56                        // 000000005470: D0C90028 0002711F
	v_add_u32_e32 v31, 64, v31                                 // 000000005478: 683E3EC0
	s_nop 0                                                    // 00000000547C: BF800000
	v_cndmask_b32_e64 v116, v39, v116, s[40:41]                // 000000005480: D1000074 00A2E927
	v_cmp_lt_u32_e64 s[40:41], v32, v56                        // 000000005488: D0C90028 00027120
	v_add_u32_e32 v32, 64, v32                                 // 000000005490: 684040C0
	s_nop 0                                                    // 000000005494: BF800000
	v_cndmask_b32_e64 v117, v39, v117, s[40:41]                // 000000005498: D1000075 00A2EB27
	v_cmp_lt_u32_e64 s[40:41], v33, v56                        // 0000000054A0: D0C90028 00027121
	v_add_u32_e32 v33, 64, v33                                 // 0000000054A8: 684242C0
	s_nop 0                                                    // 0000000054AC: BF800000
	v_cndmask_b32_e64 v118, v39, v118, s[40:41]                // 0000000054B0: D1000076 00A2ED27
	v_cmp_lt_u32_e64 s[40:41], v34, v56                        // 0000000054B8: D0C90028 00027122
	v_add_u32_e32 v34, 64, v34                                 // 0000000054C0: 684444C0
	s_nop 0                                                    // 0000000054C4: BF800000
	v_cndmask_b32_e64 v119, v39, v119, s[40:41]                // 0000000054C8: D1000077 00A2EF27
	v_cmp_lt_u32_e64 s[40:41], v31, v56                        // 0000000054D0: D0C90028 0002711F
	v_add_u32_e32 v31, 64, v31                                 // 0000000054D8: 683E3EC0
	s_nop 0                                                    // 0000000054DC: BF800000
	v_cndmask_b32_e64 v120, v39, v120, s[40:41]                // 0000000054E0: D1000078 00A2F127
	v_cmp_lt_u32_e64 s[40:41], v32, v56                        // 0000000054E8: D0C90028 00027120
	v_add_u32_e32 v32, 64, v32                                 // 0000000054F0: 684040C0
	s_nop 0                                                    // 0000000054F4: BF800000
	v_cndmask_b32_e64 v121, v39, v121, s[40:41]                // 0000000054F8: D1000079 00A2F327
	v_cmp_lt_u32_e64 s[40:41], v33, v56                        // 000000005500: D0C90028 00027121
	v_add_u32_e32 v33, 64, v33                                 // 000000005508: 684242C0
	s_nop 0                                                    // 00000000550C: BF800000
	v_cndmask_b32_e64 v122, v39, v122, s[40:41]                // 000000005510: D100007A 00A2F527
	v_cmp_lt_u32_e64 s[40:41], v34, v56                        // 000000005518: D0C90028 00027122
	v_add_u32_e32 v34, 64, v34                                 // 000000005520: 684444C0
	s_nop 0                                                    // 000000005524: BF800000
	v_cndmask_b32_e64 v123, v39, v123, s[40:41]                // 000000005528: D100007B 00A2F727
	v_cmp_lt_u32_e64 s[40:41], v31, v56                        // 000000005530: D0C90028 0002711F
	v_add_u32_e32 v31, 64, v31                                 // 000000005538: 683E3EC0
	s_nop 0                                                    // 00000000553C: BF800000
	v_cndmask_b32_e64 v124, v39, v124, s[40:41]                // 000000005540: D100007C 00A2F927
	v_cmp_lt_u32_e64 s[40:41], v32, v56                        // 000000005548: D0C90028 00027120
	v_add_u32_e32 v32, 64, v32                                 // 000000005550: 684040C0
	s_nop 0                                                    // 000000005554: BF800000
	v_cndmask_b32_e64 v125, v39, v125, s[40:41]                // 000000005558: D100007D 00A2FB27
	v_cmp_lt_u32_e64 s[40:41], v33, v56                        // 000000005560: D0C90028 00027121
	v_add_u32_e32 v33, 64, v33                                 // 000000005568: 684242C0
	s_nop 0                                                    // 00000000556C: BF800000
	v_cndmask_b32_e64 v126, v39, v126, s[40:41]                // 000000005570: D100007E 00A2FD27
	v_cmp_lt_u32_e64 s[40:41], v34, v56                        // 000000005578: D0C90028 00027122
	v_add_u32_e32 v34, 64, v34                                 // 000000005580: 684444C0
	s_nop 0                                                    // 000000005584: BF800000
	v_cndmask_b32_e64 v127, v39, v127, s[40:41]                // 000000005588: D100007F 00A2FF27
	s_nop 8                                                    // 000000005590: BF800008
	v_or_b32_dpp v112, v120, v112 row_shr:8 row_mask:0xf bank_mask:0xf bound_ctrl:1// 000000005594: 28E0E0FA FF091878
	v_or_b32_dpp v113, v121, v113 row_shr:8 row_mask:0xf bank_mask:0xf bound_ctrl:1// 00000000559C: 28E2E2FA FF091879
	v_or_b32_dpp v114, v122, v114 row_shr:8 row_mask:0xf bank_mask:0xf bound_ctrl:1// 0000000055A4: 28E4E4FA FF09187A
	v_or_b32_dpp v115, v123, v115 row_shr:8 row_mask:0xf bank_mask:0xf bound_ctrl:1// 0000000055AC: 28E6E6FA FF09187B
	v_or_b32_dpp v116, v124, v116 row_shr:8 row_mask:0xf bank_mask:0xf bound_ctrl:1// 0000000055B4: 28E8E8FA FF09187C
	v_or_b32_dpp v117, v125, v117 row_shr:8 row_mask:0xf bank_mask:0xf bound_ctrl:1// 0000000055BC: 28EAEAFA FF09187D
	v_or_b32_dpp v118, v126, v118 row_shr:8 row_mask:0xf bank_mask:0xf bound_ctrl:1// 0000000055C4: 28ECECFA FF09187E
	v_or_b32_dpp v119, v127, v119 row_shr:8 row_mask:0xf bank_mask:0xf bound_ctrl:1// 0000000055CC: 28EEEEFA FF09187F
	v_mov_b32_e32 v50, v112                                    // 0000000055D4: 7E640370
	v_max3_f32 v50, v112, v113, v50                            // 0000000055D8: D1D30032 04CAE370
	v_max3_f32 v50, v114, v115, v50                            // 0000000055E0: D1D30032 04CAE772
	v_max3_f32 v50, v116, v117, v50                            // 0000000055E8: D1D30032 04CAEB74
	v_max3_f32 v50, v118, v119, v50                            // 0000000055F0: D1D30032 04CAEF76
	ds_write_b32 v11, v50                                      // 0000000055F8: D81A0000 0000320B
	s_waitcnt lgkmcnt(0)                                       // 000000005600: BF8CC07F
	s_barrier                                                  // 000000005604: BF8A0000
	ds_read_b32 v64, v10                                       // 000000005608: D86C0000 4000000A
	ds_read_b32 v65, v10 offset:64                             // 000000005610: D86C0040 4100000A
	ds_read_b32 v66, v10 offset:128                            // 000000005618: D86C0080 4200000A
	ds_read_b32 v67, v10 offset:192                            // 000000005620: D86C00C0 4300000A
	ds_read_b32 v68, v10 offset:256                            // 000000005628: D86C0100 4400000A
	ds_read_b32 v69, v10 offset:320                            // 000000005630: D86C0140 4500000A
	ds_read_b32 v70, v10 offset:384                            // 000000005638: D86C0180 4600000A
	ds_read_b32 v71, v10 offset:448                            // 000000005640: D86C01C0 4700000A
	ds_read_b32 v72, v10 offset:512                            // 000000005648: D86C0200 4800000A
	ds_read_b32 v73, v10 offset:576                            // 000000005650: D86C0240 4900000A
	ds_read_b32 v74, v10 offset:640                            // 000000005658: D86C0280 4A00000A
	ds_read_b32 v75, v10 offset:704                            // 000000005660: D86C02C0 4B00000A
	ds_read_b32 v76, v10 offset:768                            // 000000005668: D86C0300 4C00000A
	ds_read_b32 v77, v10 offset:832                            // 000000005670: D86C0340 4D00000A
	ds_read_b32 v78, v10 offset:896                            // 000000005678: D86C0380 4E00000A
	ds_read_b32 v79, v10 offset:960                            // 000000005680: D86C03C0 4F00000A
	s_waitcnt lgkmcnt(0)                                       // 000000005688: BF8CC07F
	v_max3_f32 v50, v64, v65, v50                              // 00000000568C: D1D30032 04CA8340
	v_max3_f32 v50, v66, v67, v50                              // 000000005694: D1D30032 04CA8742
	v_max3_f32 v50, v68, v69, v50                              // 00000000569C: D1D30032 04CA8B44
	v_max3_f32 v50, v70, v71, v50                              // 0000000056A4: D1D30032 04CA8F46
	v_max3_f32 v50, v72, v73, v50                              // 0000000056AC: D1D30032 04CA9348
	v_max3_f32 v50, v74, v75, v50                              // 0000000056B4: D1D30032 04CA974A
	v_max3_f32 v50, v76, v77, v50                              // 0000000056BC: D1D30032 04CA9B4C
	v_max3_f32 v50, v78, v79, v50                              // 0000000056C4: D1D30032 04CA9F4E
	v_cmp_eq_u32_e64 s[40:41], v55, v14                        // 0000000056CC: D0CA0028 00021D37
	s_nop 1                                                    // 0000000056D4: BF800001
	v_mov_b32_dpp v39, v50 row_ror:8 row_mask:0xf bank_mask:0xf// 0000000056D8: 7E4E02FA FF012832
	v_max_f32_e32 v50, v50, v39                                // 0000000056E0: 16644F32
	v_max_f32_e32 v16, v50, v14                                // 0000000056E4: 16201D32
	v_sub_f32_e32 v51, v14, v16                                // 0000000056E8: 0466210E
	v_cndmask_b32_e64 v51, v51, 0, s[40:41]                    // 0000000056EC: D1000033 00A10133
	v_mov_b32_e32 v14, v16                                     // 0000000056F4: 7E1C0310
	v_mul_f32_e32 v53, s64, v16                                // 0000000056F8: 0A6A2040
	v_mul_f32_e32 v51, s64, v51                                // 0000000056FC: 0A666640
	v_exp_f32_e32 v51, v51                                     // 000000005700: 7E664133
	v_fma_f32 v112, v112, s64, -v53                            // 000000005704: D1CB0070 84D48170
	v_fma_f32 v113, v113, s64, -v53                            // 00000000570C: D1CB0071 84D48171
	v_fma_f32 v114, v114, s64, -v53                            // 000000005714: D1CB0072 84D48172
	v_fma_f32 v115, v115, s64, -v53                            // 00000000571C: D1CB0073 84D48173
	v_fma_f32 v116, v116, s64, -v53                            // 000000005724: D1CB0074 84D48174
	v_fma_f32 v117, v117, s64, -v53                            // 00000000572C: D1CB0075 84D48175
	v_fma_f32 v118, v118, s64, -v53                            // 000000005734: D1CB0076 84D48176
	v_fma_f32 v119, v119, s64, -v53                            // 00000000573C: D1CB0077 84D48177
	v_exp_f32_e32 v112, v112                                   // 000000005744: 7EE04170
	v_exp_f32_e32 v113, v113                                   // 000000005748: 7EE24171
	v_exp_f32_e32 v114, v114                                   // 00000000574C: 7EE44172
	v_exp_f32_e32 v115, v115                                   // 000000005750: 7EE64173
	v_exp_f32_e32 v116, v116                                   // 000000005754: 7EE84174
	v_exp_f32_e32 v117, v117                                   // 000000005758: 7EEA4175
	v_exp_f32_e32 v118, v118                                   // 00000000575C: 7EEC4176
	v_exp_f32_e32 v119, v119                                   // 000000005760: 7EEE4177
	v_mul_f32_e32 v43, v51, v43                                // 000000005764: 0A565733
	v_mov_b32_e32 v45, v112                                    // 000000005768: 7E5A0370
	v_add_f32_e32 v45, v113, v45                               // 00000000576C: 025A5B71
	v_add_f32_e32 v45, v114, v45                               // 000000005770: 025A5B72
	v_add_f32_e32 v45, v115, v45                               // 000000005774: 025A5B73
	v_add_f32_e32 v45, v116, v45                               // 000000005778: 025A5B74
	v_add_f32_e32 v45, v117, v45                               // 00000000577C: 025A5B75
	v_add_f32_e32 v45, v118, v45                               // 000000005780: 025A5B76
	v_add_f32_e32 v45, v119, v45                               // 000000005784: 025A5B77
	v_add_f32_e32 v43, v45, v43                                // 000000005788: 0256572D
	v_cvt_pkrtz_f16_f32 v39, v112, v113                        // 00000000578C: D2960027 0002E370
	v_mov_b32_e32 v112, v39                                    // 000000005794: 7EE00327
	v_cvt_pkrtz_f16_f32 v39, v114, v115                        // 000000005798: D2960027 0002E772
	v_mov_b32_e32 v113, v39                                    // 0000000057A0: 7EE20327
	v_cvt_pkrtz_f16_f32 v39, v116, v117                        // 0000000057A4: D2960027 0002EB74
	v_mov_b32_e32 v114, v39                                    // 0000000057AC: 7EE40327
	v_cvt_pkrtz_f16_f32 v39, v118, v119                        // 0000000057B0: D2960027 0002EF76
	v_mov_b32_e32 v115, v39                                    // 0000000057B8: 7EE60327
	ds_write_b64 v13, v[112:113] offset:4096                   // 0000000057BC: D89A1000 0000700D
	ds_write_b64 v13, v[114:115] offset:6144                   // 0000000057C4: D89A1800 0000720D
	s_waitcnt lgkmcnt(0)                                       // 0000000057CC: BF8CC07F
	s_barrier                                                  // 0000000057D0: BF8A0000
	ds_read_b64 v[112:113], v12 offset:4096                    // 0000000057D4: D8EC1000 7000000C
	ds_read_b64 v[114:115], v12 offset:4224                    // 0000000057DC: D8EC1080 7200000C
	ds_read_b64 v[116:117], v12 offset:5120                    // 0000000057E4: D8EC1400 7400000C
	ds_read_b64 v[118:119], v12 offset:5248                    // 0000000057EC: D8EC1480 7600000C
	ds_read_b64 v[120:121], v12 offset:6144                    // 0000000057F4: D8EC1800 7800000C
	ds_read_b64 v[122:123], v12 offset:6272                    // 0000000057FC: D8EC1880 7A00000C
	ds_read_b64 v[124:125], v12 offset:7168                    // 000000005804: D8EC1C00 7C00000C
	ds_read_b64 v[126:127], v12 offset:7296                    // 00000000580C: D8EC1C80 7E00000C
	s_waitcnt lgkmcnt(0)                                       // 000000005814: BF8CC07F
	v_mov_b32_dpp v128, v112 row_shl:8 row_mask:0xf bank_mask:0xf bound_ctrl:1// 000000005818: 7F0002FA FF090870
	v_and_b32_e32 v112, v112, v9                               // 000000005820: 26E01370
	v_mov_b32_dpp v129, v113 row_shl:8 row_mask:0xf bank_mask:0xf bound_ctrl:1// 000000005824: 7F0202FA FF090871
	v_and_b32_e32 v113, v113, v9                               // 00000000582C: 26E21371
	v_mov_b32_dpp v130, v114 row_shl:8 row_mask:0xf bank_mask:0xf bound_ctrl:1// 000000005830: 7F0402FA FF090872
	v_and_b32_e32 v114, v114, v9                               // 000000005838: 26E41372
	v_mov_b32_dpp v131, v115 row_shl:8 row_mask:0xf bank_mask:0xf bound_ctrl:1// 00000000583C: 7F0602FA FF090873
	v_and_b32_e32 v115, v115, v9                               // 000000005844: 26E61373
	v_mov_b32_dpp v132, v116 row_shl:8 row_mask:0xf bank_mask:0xf bound_ctrl:1// 000000005848: 7F0802FA FF090874
	v_and_b32_e32 v116, v116, v9                               // 000000005850: 26E81374
	v_mov_b32_dpp v133, v117 row_shl:8 row_mask:0xf bank_mask:0xf bound_ctrl:1// 000000005854: 7F0A02FA FF090875
	v_and_b32_e32 v117, v117, v9                               // 00000000585C: 26EA1375
	v_mov_b32_dpp v134, v118 row_shl:8 row_mask:0xf bank_mask:0xf bound_ctrl:1// 000000005860: 7F0C02FA FF090876
	v_and_b32_e32 v118, v118, v9                               // 000000005868: 26EC1376
	v_mov_b32_dpp v135, v119 row_shl:8 row_mask:0xf bank_mask:0xf bound_ctrl:1// 00000000586C: 7F0E02FA FF090877
	v_and_b32_e32 v119, v119, v9                               // 000000005874: 26EE1377
	v_mov_b32_dpp v136, v120 row_shl:8 row_mask:0xf bank_mask:0xf bound_ctrl:1// 000000005878: 7F1002FA FF090878
	v_and_b32_e32 v120, v120, v9                               // 000000005880: 26F01378
	v_mov_b32_dpp v137, v121 row_shl:8 row_mask:0xf bank_mask:0xf bound_ctrl:1// 000000005884: 7F1202FA FF090879
	v_and_b32_e32 v121, v121, v9                               // 00000000588C: 26F21379
	v_mov_b32_dpp v138, v122 row_shl:8 row_mask:0xf bank_mask:0xf bound_ctrl:1// 000000005890: 7F1402FA FF09087A
	v_and_b32_e32 v122, v122, v9                               // 000000005898: 26F4137A
	v_mov_b32_dpp v139, v123 row_shl:8 row_mask:0xf bank_mask:0xf bound_ctrl:1// 00000000589C: 7F1602FA FF09087B
	v_and_b32_e32 v123, v123, v9                               // 0000000058A4: 26F6137B
	v_mov_b32_dpp v140, v124 row_shl:8 row_mask:0xf bank_mask:0xf bound_ctrl:1// 0000000058A8: 7F1802FA FF09087C
	v_and_b32_e32 v124, v124, v9                               // 0000000058B0: 26F8137C
	v_mov_b32_dpp v141, v125 row_shl:8 row_mask:0xf bank_mask:0xf bound_ctrl:1// 0000000058B4: 7F1A02FA FF09087D
	v_and_b32_e32 v125, v125, v9                               // 0000000058BC: 26FA137D
	v_mov_b32_dpp v142, v126 row_shl:8 row_mask:0xf bank_mask:0xf bound_ctrl:1// 0000000058C0: 7F1C02FA FF09087E
	v_and_b32_e32 v126, v126, v9                               // 0000000058C8: 26FC137E
	v_mov_b32_dpp v143, v127 row_shl:8 row_mask:0xf bank_mask:0xf bound_ctrl:1// 0000000058CC: 7F1E02FA FF09087F
	v_and_b32_e32 v127, v127, v9                               // 0000000058D4: 26FE137F
	v_mul_f32_e32 v176, v51, v176                              // 0000000058D8: 0B616133
	v_mul_f32_e32 v177, v51, v177                              // 0000000058DC: 0B636333
	v_mul_f32_e32 v178, v51, v178                              // 0000000058E0: 0B656533
	v_mul_f32_e32 v179, v51, v179                              // 0000000058E4: 0B676733
	v_mul_f32_e32 v180, v51, v180                              // 0000000058E8: 0B696933
	v_mul_f32_e32 v181, v51, v181                              // 0000000058EC: 0B6B6B33
	v_mul_f32_e32 v182, v51, v182                              // 0000000058F0: 0B6D6D33
	v_mul_f32_e32 v183, v51, v183                              // 0000000058F4: 0B6F6F33
	s_waitcnt vmcnt(0)                                         // 0000000058F8: BF8C0F70
	s_barrier                                                  // 0000000058FC: BF8A0000
	v_mfma_f32_16x16x16_f16 v[176:179], a[192:193], v[112:113], v[176:179]// 000000005900: D3CD00B0 0EC2E1C0
	v_mfma_f32_16x16x16_f16 v[176:179], a[194:195], v[114:115], v[176:179]// 000000005908: D3CD00B0 0EC2E5C2
	v_mfma_f32_16x16x16_f16 v[176:179], a[196:197], v[116:117], v[176:179]// 000000005910: D3CD00B0 0EC2E9C4
	v_mfma_f32_16x16x16_f16 v[176:179], a[198:199], v[118:119], v[176:179]// 000000005918: D3CD00B0 0EC2EDC6
	v_mfma_f32_16x16x16_f16 v[176:179], a[200:201], v[120:121], v[176:179]// 000000005920: D3CD00B0 0EC2F1C8
	v_mfma_f32_16x16x16_f16 v[176:179], a[202:203], v[122:123], v[176:179]// 000000005928: D3CD00B0 0EC2F5CA
	v_mfma_f32_16x16x16_f16 v[176:179], a[204:205], v[124:125], v[176:179]// 000000005930: D3CD00B0 0EC2F9CC
	v_mfma_f32_16x16x16_f16 v[176:179], a[206:207], v[126:127], v[176:179]// 000000005938: D3CD00B0 0EC2FDCE
	v_mfma_f32_16x16x16_f16 v[176:179], a[208:209], v[128:129], v[176:179]// 000000005940: D3CD00B0 0EC301D0
	v_mfma_f32_16x16x16_f16 v[176:179], a[210:211], v[130:131], v[176:179]// 000000005948: D3CD00B0 0EC305D2
	v_mfma_f32_16x16x16_f16 v[176:179], a[212:213], v[132:133], v[176:179]// 000000005950: D3CD00B0 0EC309D4
	v_mfma_f32_16x16x16_f16 v[176:179], a[214:215], v[134:135], v[176:179]// 000000005958: D3CD00B0 0EC30DD6
	v_mfma_f32_16x16x16_f16 v[176:179], a[216:217], v[136:137], v[176:179]// 000000005960: D3CD00B0 0EC311D8
	v_mfma_f32_16x16x16_f16 v[176:179], a[218:219], v[138:139], v[176:179]// 000000005968: D3CD00B0 0EC315DA
	v_mfma_f32_16x16x16_f16 v[176:179], a[220:221], v[140:141], v[176:179]// 000000005970: D3CD00B0 0EC319DC
	v_mfma_f32_16x16x16_f16 v[176:179], a[222:223], v[142:143], v[176:179]// 000000005978: D3CD00B0 0EC31DDE
	v_mfma_f32_16x16x16_f16 v[180:183], a[224:225], v[112:113], v[180:183]// 000000005980: D3CD00B4 0ED2E1E0
	v_mfma_f32_16x16x16_f16 v[180:183], a[226:227], v[114:115], v[180:183]// 000000005988: D3CD00B4 0ED2E5E2
	v_mfma_f32_16x16x16_f16 v[180:183], a[228:229], v[116:117], v[180:183]// 000000005990: D3CD00B4 0ED2E9E4
	v_mfma_f32_16x16x16_f16 v[180:183], a[230:231], v[118:119], v[180:183]// 000000005998: D3CD00B4 0ED2EDE6
	v_mfma_f32_16x16x16_f16 v[180:183], a[232:233], v[120:121], v[180:183]// 0000000059A0: D3CD00B4 0ED2F1E8
	v_mfma_f32_16x16x16_f16 v[180:183], a[234:235], v[122:123], v[180:183]// 0000000059A8: D3CD00B4 0ED2F5EA
	v_mfma_f32_16x16x16_f16 v[180:183], a[236:237], v[124:125], v[180:183]// 0000000059B0: D3CD00B4 0ED2F9EC
	v_mfma_f32_16x16x16_f16 v[180:183], a[238:239], v[126:127], v[180:183]// 0000000059B8: D3CD00B4 0ED2FDEE
	v_mfma_f32_16x16x16_f16 v[180:183], a[240:241], v[128:129], v[180:183]// 0000000059C0: D3CD00B4 0ED301F0
	v_mfma_f32_16x16x16_f16 v[180:183], a[242:243], v[130:131], v[180:183]// 0000000059C8: D3CD00B4 0ED305F2
	v_mfma_f32_16x16x16_f16 v[180:183], a[244:245], v[132:133], v[180:183]// 0000000059D0: D3CD00B4 0ED309F4
	v_mfma_f32_16x16x16_f16 v[180:183], a[246:247], v[134:135], v[180:183]// 0000000059D8: D3CD00B4 0ED30DF6
	v_mfma_f32_16x16x16_f16 v[180:183], a[248:249], v[136:137], v[180:183]// 0000000059E0: D3CD00B4 0ED311F8
	v_mfma_f32_16x16x16_f16 v[180:183], a[250:251], v[138:139], v[180:183]// 0000000059E8: D3CD00B4 0ED315FA
	v_mfma_f32_16x16x16_f16 v[180:183], a[252:253], v[140:141], v[180:183]// 0000000059F0: D3CD00B4 0ED319FC
	v_mfma_f32_16x16x16_f16 v[180:183], a[254:255], v[142:143], v[180:183]// 0000000059F8: D3CD00B4 0ED31DFE
	s_nop 8                                                    // 000000005A00: BF800008
	s_branch label_0E03                                        // 000000005A04: BF820000

0000000000005a08 <label_0E03>:
	ds_write_b32 v11, v43                                      // 000000005A08: D81A0000 00002B0B
	s_waitcnt lgkmcnt(0)                                       // 000000005A10: BF8CC07F
	s_barrier                                                  // 000000005A14: BF8A0000
	ds_read_b32 v64, v10                                       // 000000005A18: D86C0000 4000000A
	ds_read_b32 v65, v10 offset:64                             // 000000005A20: D86C0040 4100000A
	ds_read_b32 v66, v10 offset:128                            // 000000005A28: D86C0080 4200000A
	ds_read_b32 v67, v10 offset:192                            // 000000005A30: D86C00C0 4300000A
	ds_read_b32 v68, v10 offset:256                            // 000000005A38: D86C0100 4400000A
	ds_read_b32 v69, v10 offset:320                            // 000000005A40: D86C0140 4500000A
	ds_read_b32 v70, v10 offset:384                            // 000000005A48: D86C0180 4600000A
	ds_read_b32 v71, v10 offset:448                            // 000000005A50: D86C01C0 4700000A
	ds_read_b32 v72, v10 offset:512                            // 000000005A58: D86C0200 4800000A
	ds_read_b32 v73, v10 offset:576                            // 000000005A60: D86C0240 4900000A
	ds_read_b32 v74, v10 offset:640                            // 000000005A68: D86C0280 4A00000A
	ds_read_b32 v75, v10 offset:704                            // 000000005A70: D86C02C0 4B00000A
	ds_read_b32 v76, v10 offset:768                            // 000000005A78: D86C0300 4C00000A
	ds_read_b32 v77, v10 offset:832                            // 000000005A80: D86C0340 4D00000A
	ds_read_b32 v78, v10 offset:896                            // 000000005A88: D86C0380 4E00000A
	ds_read_b32 v79, v10 offset:960                            // 000000005A90: D86C03C0 4F00000A
	s_waitcnt lgkmcnt(0)                                       // 000000005A98: BF8CC07F
	v_mov_b32_e32 v43, 0                                       // 000000005A9C: 7E560280
	v_add_f32_e32 v43, v64, v43                                // 000000005AA0: 02565740
	v_add_f32_e32 v43, v65, v43                                // 000000005AA4: 02565741
	v_add_f32_e32 v43, v66, v43                                // 000000005AA8: 02565742
	v_add_f32_e32 v43, v67, v43                                // 000000005AAC: 02565743
	v_add_f32_e32 v43, v68, v43                                // 000000005AB0: 02565744
	v_add_f32_e32 v43, v69, v43                                // 000000005AB4: 02565745
	v_add_f32_e32 v43, v70, v43                                // 000000005AB8: 02565746
	v_add_f32_e32 v43, v71, v43                                // 000000005ABC: 02565747
	v_add_f32_e32 v43, v72, v43                                // 000000005AC0: 02565748
	v_add_f32_e32 v43, v73, v43                                // 000000005AC4: 02565749
	v_add_f32_e32 v43, v74, v43                                // 000000005AC8: 0256574A
	v_add_f32_e32 v43, v75, v43                                // 000000005ACC: 0256574B
	v_add_f32_e32 v43, v76, v43                                // 000000005AD0: 0256574C
	v_add_f32_e32 v43, v77, v43                                // 000000005AD4: 0256574D
	v_add_f32_e32 v43, v78, v43                                // 000000005AD8: 0256574E
	v_add_f32_e32 v43, v79, v43                                // 000000005ADC: 0256574F
	s_nop 1                                                    // 000000005AE0: BF800001
	v_mov_b32_dpp v39, v43 row_ror:8 row_mask:0xf bank_mask:0xf// 000000005AE4: 7E4E02FA FF01282B
	v_add_f32_e32 v43, v43, v39                                // 000000005AEC: 02564F2B
	v_rcp_f32_e32 v43, v43                                     // 000000005AF0: 7E56452B
	s_nop 1                                                    // 000000005AF4: BF800001
	v_mul_f32_e32 v176, v43, v176                              // 000000005AF8: 0B61612B
	v_mul_f32_e32 v177, v43, v177                              // 000000005AFC: 0B63632B
	v_mul_f32_e32 v178, v43, v178                              // 000000005B00: 0B65652B
	v_mul_f32_e32 v179, v43, v179                              // 000000005B04: 0B67672B
	v_mul_f32_e32 v180, v43, v180                              // 000000005B08: 0B69692B
	v_mul_f32_e32 v181, v43, v181                              // 000000005B0C: 0B6B6B2B
	v_mul_f32_e32 v182, v43, v182                              // 000000005B10: 0B6D6D2B
	v_mul_f32_e32 v183, v43, v183                              // 000000005B14: 0B6F6F2B
	v_cvt_pkrtz_f16_f32 v39, v176, v177                        // 000000005B18: D2960027 000363B0
	v_mov_b32_e32 v176, v39                                    // 000000005B20: 7F600327
	v_cvt_pkrtz_f16_f32 v39, v178, v179                        // 000000005B24: D2960027 000367B2
	v_mov_b32_e32 v177, v39                                    // 000000005B2C: 7F620327
	v_cvt_pkrtz_f16_f32 v39, v180, v181                        // 000000005B30: D2960027 00036BB4
	v_mov_b32_e32 v178, v39                                    // 000000005B38: 7F640327
	v_cvt_pkrtz_f16_f32 v39, v182, v183                        // 000000005B3C: D2960027 00036FB6
	v_mov_b32_e32 v179, v39                                    // 000000005B44: 7F660327
	v_lshrrev_b32_e32 v39, 4, v0                               // 000000005B48: 204E0084
	v_mul_i32_i24_e32 v5, 34, v39                              // 000000005B4C: 0C0A4EA2
	v_and_b32_e32 v39, 15, v0                                  // 000000005B50: 264E008F
	v_mul_i32_i24_e32 v40, 2, v39                              // 000000005B54: 0C504E82
	v_add_u32_e32 v5, v40, v5                                  // 000000005B58: 680A0B28
	s_mul_i32 s60, s7, 0x88                                    // 000000005B5C: 923CFF07 00000088
	v_add_u32_e32 v5, s60, v5                                  // 000000005B64: 680A0A3C
	v_lshlrev_b32_e32 v5, 2, v5                                // 000000005B68: 240A0A82
	ds_write_b64 v5, v[176:177] offset:36864                   // 000000005B6C: D89A9000 0000B005
	ds_write_b64 v5, v[178:179] offset:39040                   // 000000005B74: D89A9880 0000B205
	v_lshrrev_b32_e32 v39, 1, v0                               // 000000005B7C: 204E0081
	v_mul_i32_i24_e32 v5, 34, v39                              // 000000005B80: 0C0A4EA2
	v_and_b32_e32 v40, 1, v0                                   // 000000005B84: 26500081
	v_add_u32_e32 v5, v40, v5                                  // 000000005B88: 680A0B28
	s_mul_i32 s60, s7, 2                                       // 000000005B8C: 923C8207
	v_add_u32_e32 v5, s60, v5                                  // 000000005B90: 680A0A3C
	v_lshlrev_b32_e32 v5, 2, v5                                // 000000005B94: 240A0A82
	s_waitcnt lgkmcnt(0)                                       // 000000005B98: BF8CC07F
	s_barrier                                                  // 000000005B9C: BF8A0000
	ds_read_b32 v176, v5 offset:36864                          // 000000005BA0: D86C9000 B0000005
	ds_read_b32 v177, v5 offset:36896                          // 000000005BA8: D86C9020 B1000005
	s_waitcnt lgkmcnt(0)                                       // 000000005BB0: BF8CC07F
	buffer_store_dword v176, v8, s[8:11], 0 offen              // 000000005BB4: E0701000 8002B008
	buffer_store_dword v177, v8, s[8:11], 0 offen offset:1024  // 000000005BBC: E0701400 8002B108
	s_branch label_3B1B                                        // 000000005BC4: BF822CA8

0000000000005bc8 <label_0E73>:
	s_mul_i32 s60, s3, s65                                     // 000000005BC8: 923C4103
	s_mul_i32 s60, s60, 4                                      // 000000005BCC: 923C843C
	s_add_u32 s24, s60, s24                                    // 000000005BD0: 8018183C
	s_addc_u32 s25, 0, s25                                     // 000000005BD4: 82191980
	s_mov_b32 s56, 64                                          // 000000005BD8: BEB800C0
	s_waitcnt lgkmcnt(0)                                       // 000000005BDC: BF8CC07F
	s_add_u32 s73, s72, 15                                     // 000000005BE0: 80498F48
	s_lshr_b32 s73, s73, 4                                     // 000000005BE4: 8F498449
	s_mul_i32 s60, s73, 4                                      // 000000005BE8: 923C8449
	s_mov_b32 s26, s60                                         // 000000005BEC: BE9A003C
	s_sub_u32 s89, s72, s86                                    // 000000005BF0: 80D95648
	s_mov_b32 s90, 0xff                                        // 000000005BF4: BEDA00FF 000000FF
	s_mov_b32 s91, 0x100                                       // 000000005BFC: BEDB00FF 00000100
	v_and_b32_e32 v40, 3, v0                                   // 000000005C04: 26500083
	v_cmp_eq_u32_e64 s[60:61], 0, v40                          // 000000005C08: D0CA003C 00025080
	v_and_b32_e32 v39, 12, v0                                  // 000000005C10: 264E008C
	v_add_u32_e32 v1, s7, v39                                  // 000000005C14: 68024E07
	v_cndmask_b32_e64 v1, 0, v1, s[60:61]                      // 000000005C18: D1000001 00F20280
	v_and_b32_e32 v40, 3, v0                                   // 000000005C20: 26500083
	v_cmp_eq_u32_e64 s[60:61], 0, v40                          // 000000005C24: D0CA003C 00025080
	v_lshrrev_b32_e32 v39, 5, v0                               // 000000005C2C: 204E0085
	v_and_b32_e32 v40, 14, v0                                  // 000000005C30: 2650008E
	v_add_u32_e32 v39, v40, v39                                // 000000005C34: 684E4F28
	v_cndmask_b32_e64 v39, v39, 0, s[60:61]                    // 000000005C38: D1000027 00F10127
	v_add_u32_e32 v1, v1, v39                                  // 000000005C40: 68024F01
	v_lshlrev_b32_e32 v1, 2, v1                                // 000000005C44: 24020282
	v_writelane_b32 v1, 56, 7                                  // 000000005C48: D28A0001 00010EB8
	v_writelane_b32 v1, 56, 23                                 // 000000005C50: D28A0001 00012EB8
	v_writelane_b32 v1, 60, 39                                 // 000000005C58: D28A0001 00014EBC
	v_writelane_b32 v1, 60, 55                                 // 000000005C60: D28A0001 00016EBC
	buffer_load_dword v17, v1, s[24:27], 0 offen               // 000000005C68: E0501000 80061101
	v_add_u32_e32 v1, s56, v1                                  // 000000005C70: 68020238
	buffer_load_dword v18, v1, s[24:27], 0 offen               // 000000005C74: E0501000 80061201
	s_cmp_le_u32 s73, 32                                       // 000000005C7C: BF0BA049
	s_cselect_b32 s56, 0, s56                                  // 000000005C80: 85383880
	s_mul_i32 s61, s2, s67                                     // 000000005C84: 923D4302
	s_mul_i32 s60, s84, s74                                    // 000000005C88: 923C4A54
	s_add_u32 s60, s60, s61                                    // 000000005C8C: 803C3D3C
	s_add_u32 s12, s60, s12                                    // 000000005C90: 800C0C3C
	s_addc_u32 s13, 0, s13                                     // 000000005C94: 820D0D80
	s_mul_i32 s60, s7, 0x420                                   // 000000005C98: 923CFF07 00000420
	s_add_u32 m0, 0, s60                                       // 000000005CA0: 807C3C80
	s_mul_i32 s60, s7, 0x100                                   // 000000005CA4: 923CFF07 00000100
	v_lshlrev_b32_e32 v39, 2, v0                               // 000000005CAC: 244E0082
	v_add_u32_e64 v39, v39, s60                                // 000000005CB0: D1340027 00007927
	v_add_u32_e32 v40, 0x400, v39                              // 000000005CB8: 68504EFF 00000400
	buffer_load_dword v39, s[12:15], 0 offen lds               // 000000005CC0: E0511000 80030027
	s_add_u32 m0, m0, 0x100                                    // 000000005CC8: 807CFF7C 00000100
	buffer_load_dword v40, s[12:15], 0 offen lds               // 000000005CD0: E0511000 80030028
	s_add_u32 m0, m0, 0x100                                    // 000000005CD8: 807CFF7C 00000100
	s_add_u32 s12, s74, s12                                    // 000000005CE0: 800C0C4A
	s_addc_u32 s13, 0, s13                                     // 000000005CE4: 820D0D80
	buffer_load_dword v39, s[12:15], 0 offen lds               // 000000005CE8: E0511000 80030027
	s_add_u32 m0, m0, 0x100                                    // 000000005CF0: 807CFF7C 00000100
	buffer_load_dword v40, s[12:15], 0 offen lds               // 000000005CF8: E0511000 80030028
	s_add_u32 m0, m0, 0x100                                    // 000000005D00: 807CFF7C 00000100
	s_mul_i32 s61, s2, s76                                     // 000000005D08: 923D4C02
	s_mul_i32 s60, s84, s75                                    // 000000005D0C: 923C4B54
	s_add_u32 s60, s60, s61                                    // 000000005D10: 803C3D3C
	s_add_u32 s8, s60, s8                                      // 000000005D14: 8008083C
	s_addc_u32 s9, 0, s9                                       // 000000005D18: 82090980
	s_mul_i32 s60, s7, 0x100                                   // 000000005D1C: 923CFF07 00000100
	v_lshlrev_b32_e32 v8, 2, v0                                // 000000005D24: 24100082
	v_add_u32_e64 v8, v8, s60                                  // 000000005D28: D1340008 00007908
	s_mov_b32 s70, 0                                           // 000000005D30: BEC60080
	s_and_b32 s71, s72, 0xffffff00                             // 000000005D34: 8647FF48 FFFFFF00
	v_mov_b32_e32 v54, s68                                     // 000000005D3C: 7E6C0244
	v_mov_b32_e32 v9, -1                                       // 000000005D40: 7E1202C1
	s_mov_b32 s52, 0x7060302                                   // 000000005D44: BEB400FF 07060302
	s_mov_b32 s53, 0x400                                       // 000000005D4C: BEB500FF 00000400
	s_mov_b32 s54, 0x40100                                     // 000000005D54: BEB600FF 00040100
	s_mov_b32 s55, 0x4020100                                   // 000000005D5C: BEB700FF 04020100
	v_mov_b32_dpp v9, v9 row_shl:8 row_mask:0xf bank_mask:0xf bound_ctrl:1// 000000005D64: 7E1202FA FF090809
	s_mov_b32 s6, 0x3fb8aa3b                                   // 000000005D6C: BE8600FF 3FB8AA3B
	v_mov_b32_e32 v14, 0xff800000                              // 000000005D74: 7E1C02FF FF800000
	v_mov_b32_e32 v55, 0xff800000                              // 000000005D7C: 7E6E02FF FF800000
	v_mov_b32_e32 v51, 0                                       // 000000005D84: 7E660280
	v_mov_b32_e32 v43, 0                                       // 000000005D88: 7E560280
	v_mov_b32_e32 v20, 0xffff0000                              // 000000005D8C: 7E2802FF FFFF0000
	v_mov_b32_e32 v21, 0x7fff0000                              // 000000005D94: 7E2A02FF 7FFF0000
	v_mov_b32_e32 v22, 0x7fff                                  // 000000005D9C: 7E2C02FF 00007FFF
	v_add_u32_e32 v1, s56, v1                                  // 000000005DA4: 68020238
	v_and_b32_e32 v10, 15, v0                                  // 000000005DA8: 2614008F
	v_lshlrev_b32_e32 v10, 2, v10                              // 000000005DAC: 24141482
	v_lshlrev_b32_e32 v11, 2, v0                               // 000000005DB0: 24160082
	s_mul_i32 s60, 0x100, s7                                   // 000000005DB4: 923C07FF 00000100
	v_add_u32_e32 v11, s60, v11                                // 000000005DBC: 6816163C
	v_lshrrev_b32_e32 v39, 4, v0                               // 000000005DC0: 204E0084
	v_lshlrev_b32_e32 v40, 6, v39                              // 000000005DC4: 24504E86
	v_and_b32_e32 v39, 15, v0                                  // 000000005DC8: 264E008F
	v_lshlrev_b32_e32 v39, 1, v39                              // 000000005DCC: 244E4E81
	v_add_u32_e32 v40, v39, v40                                // 000000005DD0: 68505127
	v_lshlrev_b32_e32 v12, 2, v40                              // 000000005DD4: 24185082
	v_lshlrev_b32_e32 v39, 3, v0                               // 000000005DD8: 244E0083
	s_mul_i32 s60, 0x200, s7                                   // 000000005DDC: 923C07FF 00000200
	v_add_u32_e64 v13, v39, s60                                // 000000005DE4: D134000D 00007927
	v_lshlrev_b32_e32 v6, 4, v0                                // 000000005DEC: 240C0084
	s_mul_i32 s60, s2, s69                                     // 000000005DF0: 923C4502
	s_add_u32 s16, s60, s16                                    // 000000005DF4: 8010103C
	s_addc_u32 s17, 0, s17                                     // 000000005DF8: 82111180
	v_and_b32_e32 v39, 15, v0                                  // 000000005DFC: 264E008F
	v_lshlrev_b32_e32 v7, 4, v39                               // 000000005E00: 240E4E84
	v_and_b32_e32 v39, 31, v0                                  // 000000005E04: 264E009F
	v_lshrrev_b32_e32 v39, 4, v39                              // 000000005E08: 204E4E84
	v_mul_i32_i24_e32 v39, 0x800, v39                          // 000000005E0C: 0C4E4EFF 00000800
	v_add_u32_e32 v7, v39, v7                                  // 000000005E14: 680E0F27
	s_mul_i32 s61, s2, s69                                     // 000000005E18: 923D4502
	s_mul_i32 s60, s7, 0x100                                   // 000000005E1C: 923CFF07 00000100
	s_add_u32 s60, s60, s61                                    // 000000005E24: 803C3D3C
	s_add_u32 s20, s60, s20                                    // 000000005E28: 8014143C
	s_addc_u32 s21, 0, s21                                     // 000000005E2C: 82151580
	s_waitcnt vmcnt(4)                                         // 000000005E30: BF8C0F74
	v_mul_u32_u24_dpp v39, v17, v54 row_newbcast:0 row_mask:0xf bank_mask:0xf// 000000005E34: 104E6CFA FF015011
	v_mul_u32_u24_dpp v40, v17, v54 row_newbcast:4 row_mask:0xf bank_mask:0xf// 000000005E3C: 10506CFA FF015411
	v_mul_u32_u24_dpp v41, v17, v54 row_newbcast:8 row_mask:0xf bank_mask:0xf// 000000005E44: 10526CFA FF015811
	v_mul_u32_u24_dpp v42, v17, v54 row_newbcast:12 row_mask:0xf bank_mask:0xf// 000000005E4C: 10546CFA FF015C11
	v_add_u32_e32 v23, v39, v6                                 // 000000005E54: 682E0D27
	v_add_u32_e32 v24, v40, v6                                 // 000000005E58: 68300D28
	v_add_u32_e32 v25, v41, v6                                 // 000000005E5C: 68320D29
	v_add_u32_e32 v26, v42, v6                                 // 000000005E60: 68340D2A
	v_mul_u32_u24_dpp v39, v17, v54 row_newbcast:1 row_mask:0xf bank_mask:0xf// 000000005E64: 104E6CFA FF015111
	v_mul_u32_u24_dpp v40, v17, v54 row_newbcast:2 row_mask:0xf bank_mask:0xf// 000000005E6C: 10506CFA FF015211
	v_mul_u32_u24_dpp v41, v17, v54 row_newbcast:5 row_mask:0xf bank_mask:0xf// 000000005E74: 10526CFA FF015511
	v_mul_u32_u24_dpp v42, v17, v54 row_newbcast:6 row_mask:0xf bank_mask:0xf// 000000005E7C: 10546CFA FF015611
	v_add_u32_e32 v192, v39, v7                                // 000000005E84: 69800F27
	v_add_u32_e32 v193, v40, v7                                // 000000005E88: 69820F28
	v_add_u32_e32 v194, v41, v7                                // 000000005E8C: 69840F29
	v_add_u32_e32 v195, v42, v7                                // 000000005E90: 69860F2A
	v_mul_u32_u24_dpp v39, v17, v54 row_newbcast:9 row_mask:0xf bank_mask:0xf// 000000005E94: 104E6CFA FF015911
	v_mul_u32_u24_dpp v40, v17, v54 row_newbcast:10 row_mask:0xf bank_mask:0xf// 000000005E9C: 10506CFA FF015A11
	v_mul_u32_u24_dpp v41, v17, v54 row_newbcast:13 row_mask:0xf bank_mask:0xf// 000000005EA4: 10526CFA FF015D11
	v_mul_u32_u24_dpp v42, v17, v54 row_newbcast:7 row_mask:0xf bank_mask:0xf// 000000005EAC: 10546CFA FF015711
	v_add_u32_e32 v196, v39, v7                                // 000000005EB4: 69880F27
	v_add_u32_e32 v197, v40, v7                                // 000000005EB8: 698A0F28
	v_add_u32_e32 v198, v41, v7                                // 000000005EBC: 698C0F29
	v_add_u32_e32 v199, v42, v7                                // 000000005EC0: 698E0F2A
	buffer_load_dwordx4 a[0:3], v23, s[16:19], 0 offen         // 000000005EC4: E05C1000 80840017
	buffer_load_dwordx4 a[4:7], v23, s[16:19], 0 offen offset:1024// 000000005ECC: E05C1400 80840417
	buffer_load_dwordx4 a[8:11], v23, s[16:19], 0 offen offset:2048// 000000005ED4: E05C1800 80840817
	buffer_load_dwordx4 a[12:15], v23, s[16:19], 0 offen offset:3072// 000000005EDC: E05C1C00 80840C17
	buffer_load_dwordx4 a[16:19], v24, s[16:19], 0 offen       // 000000005EE4: E05C1000 80841018
	buffer_load_dwordx4 a[20:23], v24, s[16:19], 0 offen offset:1024// 000000005EEC: E05C1400 80841418
	buffer_load_dwordx4 a[24:27], v24, s[16:19], 0 offen offset:2048// 000000005EF4: E05C1800 80841818
	buffer_load_dwordx4 a[28:31], v24, s[16:19], 0 offen offset:3072// 000000005EFC: E05C1C00 80841C18
	buffer_load_dwordx4 a[32:35], v25, s[16:19], 0 offen       // 000000005F04: E05C1000 80842019
	buffer_load_dwordx4 a[36:39], v25, s[16:19], 0 offen offset:1024// 000000005F0C: E05C1400 80842419
	buffer_load_dwordx4 a[40:43], v25, s[16:19], 0 offen offset:2048// 000000005F14: E05C1800 80842819
	buffer_load_dwordx4 a[44:47], v25, s[16:19], 0 offen offset:3072// 000000005F1C: E05C1C00 80842C19
	buffer_load_dwordx4 a[48:51], v26, s[16:19], 0 offen       // 000000005F24: E05C1000 8084301A
	buffer_load_dwordx4 a[52:55], v26, s[16:19], 0 offen offset:1024// 000000005F2C: E05C1400 8084341A
	buffer_load_dwordx4 a[56:59], v26, s[16:19], 0 offen offset:2048// 000000005F34: E05C1800 8084381A
	buffer_load_dwordx4 a[60:63], v26, s[16:19], 0 offen offset:3072// 000000005F3C: E05C1C00 80843C1A
	buffer_load_dwordx4 a[128:131], v192, s[20:23], 0 offen    // 000000005F44: E05C1000 808580C0
	buffer_load_dwordx4 a[132:135], v193, s[20:23], 0 offen    // 000000005F4C: E05C1000 808584C1
	buffer_load_dwordx4 a[136:139], v194, s[20:23], 0 offen    // 000000005F54: E05C1000 808588C2
	buffer_load_dwordx4 a[140:143], v195, s[20:23], 0 offen    // 000000005F5C: E05C1000 80858CC3
	buffer_load_dwordx4 a[144:147], v196, s[20:23], 0 offen    // 000000005F64: E05C1000 808590C4
	buffer_load_dwordx4 a[148:151], v197, s[20:23], 0 offen    // 000000005F6C: E05C1000 808594C5
	buffer_load_dwordx4 a[152:155], v198, s[20:23], 0 offen    // 000000005F74: E05C1000 808598C6
	buffer_load_dwordx4 a[156:159], v199, s[20:23], 0 offen    // 000000005F7C: E05C1000 80859CC7
	buffer_load_dwordx4 a[160:163], v192, s[20:23], 0 offen offset:1024// 000000005F84: E05C1400 8085A0C0
	buffer_load_dwordx4 a[164:167], v193, s[20:23], 0 offen offset:1024// 000000005F8C: E05C1400 8085A4C1
	buffer_load_dwordx4 a[168:171], v194, s[20:23], 0 offen offset:1024// 000000005F94: E05C1400 8085A8C2
	buffer_load_dwordx4 a[172:175], v195, s[20:23], 0 offen offset:1024// 000000005F9C: E05C1400 8085ACC3
	buffer_load_dwordx4 a[176:179], v196, s[20:23], 0 offen offset:1024// 000000005FA4: E05C1400 8085B0C4
	buffer_load_dwordx4 a[180:183], v197, s[20:23], 0 offen offset:1024// 000000005FAC: E05C1400 8085B4C5
	buffer_load_dwordx4 a[184:187], v198, s[20:23], 0 offen offset:1024// 000000005FB4: E05C1400 8085B8C6
	buffer_load_dwordx4 a[188:191], v199, s[20:23], 0 offen offset:1024// 000000005FBC: E05C1400 8085BCC7
	v_lshrrev_b32_e32 v39, 4, v0                               // 000000005FC4: 204E0084
	v_lshlrev_b32_e32 v40, 2, v39                              // 000000005FC8: 24504E82
	v_and_b32_e32 v39, 15, v0                                  // 000000005FCC: 264E008F
	v_lshrrev_b32_e32 v41, 2, v39                              // 000000005FD0: 20524E82
	v_lshlrev_b32_e32 v41, 6, v41                              // 000000005FD4: 24525286
	v_add_u32_e32 v40, v41, v40                                // 000000005FD8: 68505129
	v_and_b32_e32 v39, 3, v0                                   // 000000005FDC: 264E0083
	v_mul_i32_i24_e32 v41, 0x108, v39                          // 000000005FE0: 0C524EFF 00000108
	v_add_u32_e32 v40, v41, v40                                // 000000005FE8: 68505129
	v_lshlrev_b32_e32 v4, 2, v40                               // 000000005FEC: 24085082
	s_waitcnt vmcnt(32) lgkmcnt(0)                             // 000000005FF0: BF8C8070
	s_barrier                                                  // 000000005FF4: BF8A0000
	ds_read_b128 v[80:83], v4                                  // 000000005FF8: D9FE0000 50000004
	ds_read_b128 v[84:87], v4 offset:64                        // 000000006000: D9FE0040 54000004
	ds_read_b128 v[88:91], v4 offset:128                       // 000000006008: D9FE0080 58000004
	ds_read_b128 v[92:95], v4 offset:192                       // 000000006010: D9FE00C0 5C000004
	v_mov_b32_e32 v176, 0                                      // 000000006018: 7F600280
	v_mov_b32_e32 v177, 0                                      // 00000000601C: 7F620280
	v_mov_b32_e32 v178, 0                                      // 000000006020: 7F640280
	v_mov_b32_e32 v179, 0                                      // 000000006024: 7F660280
	v_mov_b32_e32 v180, 0                                      // 000000006028: 7F680280
	v_mov_b32_e32 v181, 0                                      // 00000000602C: 7F6A0280
	v_mov_b32_e32 v182, 0                                      // 000000006030: 7F6C0280
	v_mov_b32_e32 v183, 0                                      // 000000006034: 7F6E0280
	s_waitcnt vmcnt(16) lgkmcnt(0)                             // 000000006038: BF8C4070
	s_barrier                                                  // 00000000603C: BF8A0000
	v_mul_u32_u24_dpp v39, v18, v54 row_newbcast:0 row_mask:0xf bank_mask:0xf// 000000006040: 104E6CFA FF015012
	v_mul_u32_u24_dpp v40, v18, v54 row_newbcast:4 row_mask:0xf bank_mask:0xf// 000000006048: 10506CFA FF015412
	v_mul_u32_u24_dpp v41, v18, v54 row_newbcast:8 row_mask:0xf bank_mask:0xf// 000000006050: 10526CFA FF015812
	v_mul_u32_u24_dpp v42, v18, v54 row_newbcast:12 row_mask:0xf bank_mask:0xf// 000000006058: 10546CFA FF015C12
	v_add_u32_e32 v27, v39, v6                                 // 000000006060: 68360D27
	v_add_u32_e32 v28, v40, v6                                 // 000000006064: 68380D28
	v_add_u32_e32 v29, v41, v6                                 // 000000006068: 683A0D29
	v_add_u32_e32 v30, v42, v6                                 // 00000000606C: 683C0D2A
	v_mul_u32_u24_dpp v39, v18, v54 row_newbcast:1 row_mask:0xf bank_mask:0xf// 000000006070: 104E6CFA FF015112
	v_mul_u32_u24_dpp v40, v18, v54 row_newbcast:2 row_mask:0xf bank_mask:0xf// 000000006078: 10506CFA FF015212
	v_mul_u32_u24_dpp v41, v18, v54 row_newbcast:5 row_mask:0xf bank_mask:0xf// 000000006080: 10526CFA FF015512
	v_mul_u32_u24_dpp v42, v18, v54 row_newbcast:6 row_mask:0xf bank_mask:0xf// 000000006088: 10546CFA FF015612
	v_add_u32_e32 v200, v39, v7                                // 000000006090: 69900F27
	v_add_u32_e32 v201, v40, v7                                // 000000006094: 69920F28
	v_add_u32_e32 v202, v41, v7                                // 000000006098: 69940F29
	v_add_u32_e32 v203, v42, v7                                // 00000000609C: 69960F2A
	v_mul_u32_u24_dpp v39, v18, v54 row_newbcast:9 row_mask:0xf bank_mask:0xf// 0000000060A0: 104E6CFA FF015912
	v_mul_u32_u24_dpp v40, v18, v54 row_newbcast:10 row_mask:0xf bank_mask:0xf// 0000000060A8: 10506CFA FF015A12
	v_mul_u32_u24_dpp v41, v18, v54 row_newbcast:13 row_mask:0xf bank_mask:0xf// 0000000060B0: 10526CFA FF015D12
	v_mul_u32_u24_dpp v42, v18, v54 row_newbcast:7 row_mask:0xf bank_mask:0xf// 0000000060B8: 10546CFA FF015712
	v_add_u32_e32 v204, v39, v7                                // 0000000060C0: 69980F27
	v_add_u32_e32 v205, v40, v7                                // 0000000060C4: 699A0F28
	v_add_u32_e32 v206, v41, v7                                // 0000000060C8: 699C0F29
	v_add_u32_e32 v207, v42, v7                                // 0000000060CC: 699E0F2A
	s_cmp_lt_u32 s73, 16                                       // 0000000060D0: BF0A9049
	s_cbranch_scc1 label_18D9                                  // 0000000060D4: BF850922
	s_cmp_lt_i32 s7, 2                                         // 0000000060D8: BF048207
	s_cbranch_scc0 label_1449                                  // 0000000060DC: BF840490

00000000000060e0 <label_0FB9>:
	s_waitcnt vmcnt(16) lgkmcnt(0)                             // 0000000060E0: BF8C4070
	v_mfma_f32_16x16x16_f16 v[112:115], a[0:1], v[80:81], 0    // 0000000060E4: D3CD0070 0A02A100
	v_mfma_f32_16x16x16_f16 v[112:115], a[2:3], v[82:83], v[112:115]// 0000000060EC: D3CD0070 0DC2A502
	buffer_load_dwordx4 a[64:67], v27, s[16:19], 0 offen       // 0000000060F4: E05C1000 8084401B
	v_mfma_f32_16x16x16_f16 v[112:115], a[4:5], v[84:85], v[112:115]// 0000000060FC: D3CD0070 0DC2A904
	v_mfma_f32_16x16x16_f16 v[112:115], a[6:7], v[86:87], v[112:115]// 000000006104: D3CD0070 0DC2AD06
	buffer_load_dword v17, v1, s[24:27], 0 offen               // 00000000610C: E0501000 80061101
	v_mfma_f32_16x16x16_f16 v[112:115], a[8:9], v[88:89], v[112:115]// 000000006114: D3CD0070 0DC2B108
	v_mfma_f32_16x16x16_f16 v[112:115], a[10:11], v[90:91], v[112:115]// 00000000611C: D3CD0070 0DC2B50A
	buffer_load_dwordx4 a[68:71], v27, s[16:19], 0 offen offset:1024// 000000006124: E05C1400 8084441B
	v_mfma_f32_16x16x16_f16 v[112:115], a[12:13], v[92:93], v[112:115]// 00000000612C: D3CD0070 0DC2B90C
	v_mfma_f32_16x16x16_f16 v[112:115], a[14:15], v[94:95], v[112:115]// 000000006134: D3CD0070 0DC2BD0E
	v_mfma_f32_16x16x16_f16 v[116:119], a[16:17], v[80:81], 0  // 00000000613C: D3CD0074 0A02A110
	v_mfma_f32_16x16x16_f16 v[116:119], a[18:19], v[82:83], v[116:119]// 000000006144: D3CD0074 0DD2A512
	buffer_load_dwordx4 a[72:75], v27, s[16:19], 0 offen offset:2048// 00000000614C: E05C1800 8084481B
	v_mfma_f32_16x16x16_f16 v[116:119], a[20:21], v[84:85], v[116:119]// 000000006154: D3CD0074 0DD2A914
	v_mfma_f32_16x16x16_f16 v[116:119], a[22:23], v[86:87], v[116:119]// 00000000615C: D3CD0074 0DD2AD16
	v_mfma_f32_16x16x16_f16 v[116:119], a[24:25], v[88:89], v[116:119]// 000000006164: D3CD0074 0DD2B118
	v_mfma_f32_16x16x16_f16 v[116:119], a[26:27], v[90:91], v[116:119]// 00000000616C: D3CD0074 0DD2B51A
	buffer_load_dwordx4 a[76:79], v27, s[16:19], 0 offen offset:3072// 000000006174: E05C1C00 80844C1B
	v_mfma_f32_16x16x16_f16 v[116:119], a[28:29], v[92:93], v[116:119]// 00000000617C: D3CD0074 0DD2B91C
	v_mfma_f32_16x16x16_f16 v[116:119], a[30:31], v[94:95], v[116:119]// 000000006184: D3CD0074 0DD2BD1E
	v_mfma_f32_16x16x16_f16 v[120:123], a[32:33], v[80:81], 0  // 00000000618C: D3CD0078 0A02A120
	v_mfma_f32_16x16x16_f16 v[120:123], a[34:35], v[82:83], v[120:123]// 000000006194: D3CD0078 0DE2A522
	buffer_load_dwordx4 a[80:83], v28, s[16:19], 0 offen       // 00000000619C: E05C1000 8084501C
	v_mfma_f32_16x16x16_f16 v[120:123], a[36:37], v[84:85], v[120:123]// 0000000061A4: D3CD0078 0DE2A924
	v_mfma_f32_16x16x16_f16 v[120:123], a[38:39], v[86:87], v[120:123]// 0000000061AC: D3CD0078 0DE2AD26
	v_mfma_f32_16x16x16_f16 v[120:123], a[40:41], v[88:89], v[120:123]// 0000000061B4: D3CD0078 0DE2B128
	v_mfma_f32_16x16x16_f16 v[120:123], a[42:43], v[90:91], v[120:123]// 0000000061BC: D3CD0078 0DE2B52A
	buffer_load_dwordx4 a[84:87], v28, s[16:19], 0 offen offset:1024// 0000000061C4: E05C1400 8084541C
	v_mfma_f32_16x16x16_f16 v[120:123], a[44:45], v[92:93], v[120:123]// 0000000061CC: D3CD0078 0DE2B92C
	v_mfma_f32_16x16x16_f16 v[120:123], a[46:47], v[94:95], v[120:123]// 0000000061D4: D3CD0078 0DE2BD2E
	v_mfma_f32_16x16x16_f16 v[124:127], a[48:49], v[80:81], 0  // 0000000061DC: D3CD007C 0A02A130
	v_mfma_f32_16x16x16_f16 v[124:127], a[50:51], v[82:83], v[124:127]// 0000000061E4: D3CD007C 0DF2A532
	buffer_load_dwordx4 a[88:91], v28, s[16:19], 0 offen offset:2048// 0000000061EC: E05C1800 8084581C
	v_mfma_f32_16x16x16_f16 v[124:127], a[52:53], v[84:85], v[124:127]// 0000000061F4: D3CD007C 0DF2A934
	v_mfma_f32_16x16x16_f16 v[124:127], a[54:55], v[86:87], v[124:127]// 0000000061FC: D3CD007C 0DF2AD36
	v_mfma_f32_16x16x16_f16 v[124:127], a[56:57], v[88:89], v[124:127]// 000000006204: D3CD007C 0DF2B138
	v_mfma_f32_16x16x16_f16 v[124:127], a[58:59], v[90:91], v[124:127]// 00000000620C: D3CD007C 0DF2B53A
	buffer_load_dwordx4 a[92:95], v28, s[16:19], 0 offen offset:3072// 000000006214: E05C1C00 80845C1C
	v_mfma_f32_16x16x16_f16 v[124:127], a[60:61], v[92:93], v[124:127]// 00000000621C: D3CD007C 0DF2B93C
	v_mfma_f32_16x16x16_f16 v[124:127], a[62:63], v[94:95], v[124:127]// 000000006224: D3CD007C 0DF2BD3E
	s_cmp_le_i32 s90, s89                                      // 00000000622C: BF05595A
	s_cbranch_scc1 label_1081                                  // 000000006230: BF850073
	v_mov_b32_e32 v55, 0xff800000                              // 000000006234: 7E6E02FF FF800000
	s_mov_b32 s60, s90                                         // 00000000623C: BEBC005A
	s_add_u32 s61, s89, 0xff                                   // 000000006240: 803DFF59 000000FF
	v_mov_b32_e32 v39, s61                                     // 000000006248: 7E4E023D
	v_lshrrev_b32_e32 v31, 4, v0                               // 00000000624C: 203E0084
	v_mul_i32_i24_e32 v31, 4, v31                              // 000000006250: 0C3E3E84
	v_add_u32_e32 v31, s60, v31                                // 000000006254: 683E3E3C
	v_and_b32_e32 v40, 15, v0                                  // 000000006258: 2650008F
	v_lshrrev_b32_e32 v40, 3, v40                              // 00000000625C: 20505083
	s_mov_b32 s61, 0                                           // 000000006260: BEBD0080
	s_mul_i32 s60, 16, s7                                      // 000000006264: 923C0790
	v_add_u32_e32 v40, s61, v40                                // 000000006268: 6850503D
	v_sub_u32_e32 v31, v31, v40                                // 00000000626C: 6A3E511F
	v_add_u32_e32 v31, s60, v31                                // 000000006270: 683E3E3C
	v_add_u32_e32 v32, 1, v31                                  // 000000006274: 68403E81
	v_add_u32_e32 v33, 2, v31                                  // 000000006278: 68423E82
	v_add_u32_e32 v34, 3, v31                                  // 00000000627C: 68443E83
	v_cmp_le_u32_e64 s[40:41], v31, v39                        // 000000006280: D0CB0028 00024F1F
	v_add_u32_e32 v31, 64, v31                                 // 000000006288: 683E3EC0
	s_nop 0                                                    // 00000000628C: BF800000
	v_cndmask_b32_e64 v112, v55, v112, s[40:41]                // 000000006290: D1000070 00A2E137
	v_cmp_le_u32_e64 s[40:41], v32, v39                        // 000000006298: D0CB0028 00024F20
	v_add_u32_e32 v32, 64, v32                                 // 0000000062A0: 684040C0
	s_nop 0                                                    // 0000000062A4: BF800000
	v_cndmask_b32_e64 v113, v55, v113, s[40:41]                // 0000000062A8: D1000071 00A2E337
	v_cmp_le_u32_e64 s[40:41], v33, v39                        // 0000000062B0: D0CB0028 00024F21
	v_add_u32_e32 v33, 64, v33                                 // 0000000062B8: 684242C0
	s_nop 0                                                    // 0000000062BC: BF800000
	v_cndmask_b32_e64 v114, v55, v114, s[40:41]                // 0000000062C0: D1000072 00A2E537
	v_cmp_le_u32_e64 s[40:41], v34, v39                        // 0000000062C8: D0CB0028 00024F22
	v_add_u32_e32 v34, 64, v34                                 // 0000000062D0: 684444C0
	s_nop 0                                                    // 0000000062D4: BF800000
	v_cndmask_b32_e64 v115, v55, v115, s[40:41]                // 0000000062D8: D1000073 00A2E737
	v_cmp_le_u32_e64 s[40:41], v31, v39                        // 0000000062E0: D0CB0028 00024F1F
	v_add_u32_e32 v31, 64, v31                                 // 0000000062E8: 683E3EC0
	s_nop 0                                                    // 0000000062EC: BF800000
	v_cndmask_b32_e64 v116, v55, v116, s[40:41]                // 0000000062F0: D1000074 00A2E937
	v_cmp_le_u32_e64 s[40:41], v32, v39                        // 0000000062F8: D0CB0028 00024F20
	v_add_u32_e32 v32, 64, v32                                 // 000000006300: 684040C0
	s_nop 0                                                    // 000000006304: BF800000
	v_cndmask_b32_e64 v117, v55, v117, s[40:41]                // 000000006308: D1000075 00A2EB37
	v_cmp_le_u32_e64 s[40:41], v33, v39                        // 000000006310: D0CB0028 00024F21
	v_add_u32_e32 v33, 64, v33                                 // 000000006318: 684242C0
	s_nop 0                                                    // 00000000631C: BF800000
	v_cndmask_b32_e64 v118, v55, v118, s[40:41]                // 000000006320: D1000076 00A2ED37
	v_cmp_le_u32_e64 s[40:41], v34, v39                        // 000000006328: D0CB0028 00024F22
	v_add_u32_e32 v34, 64, v34                                 // 000000006330: 684444C0
	s_nop 0                                                    // 000000006334: BF800000
	v_cndmask_b32_e64 v119, v55, v119, s[40:41]                // 000000006338: D1000077 00A2EF37
	v_cmp_le_u32_e64 s[40:41], v31, v39                        // 000000006340: D0CB0028 00024F1F
	v_add_u32_e32 v31, 64, v31                                 // 000000006348: 683E3EC0
	s_nop 0                                                    // 00000000634C: BF800000
	v_cndmask_b32_e64 v120, v55, v120, s[40:41]                // 000000006350: D1000078 00A2F137
	v_cmp_le_u32_e64 s[40:41], v32, v39                        // 000000006358: D0CB0028 00024F20
	v_add_u32_e32 v32, 64, v32                                 // 000000006360: 684040C0
	s_nop 0                                                    // 000000006364: BF800000
	v_cndmask_b32_e64 v121, v55, v121, s[40:41]                // 000000006368: D1000079 00A2F337
	v_cmp_le_u32_e64 s[40:41], v33, v39                        // 000000006370: D0CB0028 00024F21
	v_add_u32_e32 v33, 64, v33                                 // 000000006378: 684242C0
	s_nop 0                                                    // 00000000637C: BF800000
	v_cndmask_b32_e64 v122, v55, v122, s[40:41]                // 000000006380: D100007A 00A2F537
	v_cmp_le_u32_e64 s[40:41], v34, v39                        // 000000006388: D0CB0028 00024F22
	v_add_u32_e32 v34, 64, v34                                 // 000000006390: 684444C0
	s_nop 0                                                    // 000000006394: BF800000
	v_cndmask_b32_e64 v123, v55, v123, s[40:41]                // 000000006398: D100007B 00A2F737
	v_cmp_le_u32_e64 s[40:41], v31, v39                        // 0000000063A0: D0CB0028 00024F1F
	v_add_u32_e32 v31, 64, v31                                 // 0000000063A8: 683E3EC0
	s_nop 0                                                    // 0000000063AC: BF800000
	v_cndmask_b32_e64 v124, v55, v124, s[40:41]                // 0000000063B0: D100007C 00A2F937
	v_cmp_le_u32_e64 s[40:41], v32, v39                        // 0000000063B8: D0CB0028 00024F20
	v_add_u32_e32 v32, 64, v32                                 // 0000000063C0: 684040C0
	s_nop 0                                                    // 0000000063C4: BF800000
	v_cndmask_b32_e64 v125, v55, v125, s[40:41]                // 0000000063C8: D100007D 00A2FB37
	v_cmp_le_u32_e64 s[40:41], v33, v39                        // 0000000063D0: D0CB0028 00024F21
	v_add_u32_e32 v33, 64, v33                                 // 0000000063D8: 684242C0
	s_nop 0                                                    // 0000000063DC: BF800000
	v_cndmask_b32_e64 v126, v55, v126, s[40:41]                // 0000000063E0: D100007E 00A2FD37
	v_cmp_le_u32_e64 s[40:41], v34, v39                        // 0000000063E8: D0CB0028 00024F22
	v_add_u32_e32 v34, 64, v34                                 // 0000000063F0: 684444C0
	s_nop 0                                                    // 0000000063F4: BF800000
	v_cndmask_b32_e64 v127, v55, v127, s[40:41]                // 0000000063F8: D100007F 00A2FF37

0000000000006400 <label_1081>:
	s_add_u32 s90, s91, s90                                    // 000000006400: 805A5A5B
	s_nop 0                                                    // 000000006404: BF800000
	buffer_load_dwordx4 a[96:99], v29, s[16:19], 0 offen       // 000000006408: E05C1000 8084601D
	s_nop 8                                                    // 000000006410: BF800008
	buffer_load_dwordx4 a[100:103], v29, s[16:19], 0 offen offset:1024// 000000006414: E05C1400 8084641D
	v_mov_b32_e32 v50, v112                                    // 00000000641C: 7E640370
	v_max3_f32 v50, v112, v113, v50                            // 000000006420: D1D30032 04CAE370
	v_max3_f32 v50, v114, v115, v50                            // 000000006428: D1D30032 04CAE772
	v_max3_f32 v50, v116, v117, v50                            // 000000006430: D1D30032 04CAEB74
	v_max3_f32 v50, v118, v119, v50                            // 000000006438: D1D30032 04CAEF76
	v_max3_f32 v50, v120, v121, v50                            // 000000006440: D1D30032 04CAF378
	v_max3_f32 v50, v122, v123, v50                            // 000000006448: D1D30032 04CAF77A
	v_max3_f32 v50, v124, v125, v50                            // 000000006450: D1D30032 04CAFB7C
	v_max3_f32 v50, v126, v127, v50                            // 000000006458: D1D30032 04CAFF7E
	ds_write_b32 v11, v50                                      // 000000006460: D81A0000 0000320B
	buffer_load_dwordx4 a[104:107], v29, s[16:19], 0 offen offset:2048// 000000006468: E05C1800 8084681D
	s_waitcnt lgkmcnt(0)                                       // 000000006470: BF8CC07F
	s_barrier                                                  // 000000006474: BF8A0000
	ds_read_b32 v64, v10                                       // 000000006478: D86C0000 4000000A
	buffer_load_dwordx4 a[108:111], v29, s[16:19], 0 offen offset:3072// 000000006480: E05C1C00 80846C1D
	ds_read_b32 v65, v10 offset:64                             // 000000006488: D86C0040 4100000A
	ds_read_b32 v66, v10 offset:128                            // 000000006490: D86C0080 4200000A
	ds_read_b32 v67, v10 offset:192                            // 000000006498: D86C00C0 4300000A
	ds_read_b32 v68, v10 offset:256                            // 0000000064A0: D86C0100 4400000A
	ds_read_b32 v69, v10 offset:320                            // 0000000064A8: D86C0140 4500000A
	ds_read_b32 v70, v10 offset:384                            // 0000000064B0: D86C0180 4600000A
	ds_read_b32 v71, v10 offset:448                            // 0000000064B8: D86C01C0 4700000A
	ds_read_b32 v72, v10 offset:512                            // 0000000064C0: D86C0200 4800000A
	buffer_load_dwordx4 a[112:115], v30, s[16:19], 0 offen     // 0000000064C8: E05C1000 8084701E
	ds_read_b32 v73, v10 offset:576                            // 0000000064D0: D86C0240 4900000A
	ds_read_b32 v74, v10 offset:640                            // 0000000064D8: D86C0280 4A00000A
	ds_read_b32 v75, v10 offset:704                            // 0000000064E0: D86C02C0 4B00000A
	ds_read_b32 v76, v10 offset:768                            // 0000000064E8: D86C0300 4C00000A
	ds_read_b32 v77, v10 offset:832                            // 0000000064F0: D86C0340 4D00000A
	ds_read_b32 v78, v10 offset:896                            // 0000000064F8: D86C0380 4E00000A
	ds_read_b32 v79, v10 offset:960                            // 000000006500: D86C03C0 4F00000A
	buffer_load_dwordx4 a[116:119], v30, s[16:19], 0 offen offset:1024// 000000006508: E05C1400 8084741E
	buffer_load_dwordx4 a[120:123], v30, s[16:19], 0 offen offset:2048// 000000006510: E05C1800 8084781E
	s_waitcnt lgkmcnt(0)                                       // 000000006518: BF8CC07F
	v_max3_f32 v50, v64, v65, v50                              // 00000000651C: D1D30032 04CA8340
	v_max3_f32 v50, v66, v67, v50                              // 000000006524: D1D30032 04CA8742
	v_max3_f32 v50, v68, v69, v50                              // 00000000652C: D1D30032 04CA8B44
	v_max3_f32 v50, v70, v71, v50                              // 000000006534: D1D30032 04CA8F46
	v_max3_f32 v50, v72, v73, v50                              // 00000000653C: D1D30032 04CA9348
	v_max3_f32 v50, v74, v75, v50                              // 000000006544: D1D30032 04CA974A
	v_max3_f32 v50, v76, v77, v50                              // 00000000654C: D1D30032 04CA9B4C
	v_max3_f32 v50, v78, v79, v50                              // 000000006554: D1D30032 04CA9F4E
	buffer_load_dwordx4 a[124:127], v30, s[16:19], 0 offen offset:3072// 00000000655C: E05C1C00 80847C1E
	v_cmp_eq_u32_e64 s[40:41], v55, v14                        // 000000006564: D0CA0028 00021D37
	s_nop 1                                                    // 00000000656C: BF800001
	v_max_f32_e32 v16, v50, v14                                // 000000006570: 16201D32
	v_sub_f32_e32 v51, v14, v16                                // 000000006574: 0466210E
	v_cndmask_b32_e64 v51, v51, 0, s[40:41]                    // 000000006578: D1000033 00A10133
	v_mov_b32_e32 v14, v16                                     // 000000006580: 7E1C0310
	v_mul_f32_e32 v53, s64, v16                                // 000000006584: 0A6A2040
	v_mul_f32_e32 v51, s64, v51                                // 000000006588: 0A666640
	v_exp_f32_e32 v51, v51                                     // 00000000658C: 7E664133
	buffer_load_dwordx4 a[192:195], v200, s[20:23], 0 offen    // 000000006590: E05C1000 8085C0C8
	v_fma_f32 v112, v112, s64, -v53                            // 000000006598: D1CB0070 84D48170
	v_fma_f32 v113, v113, s64, -v53                            // 0000000065A0: D1CB0071 84D48171
	v_fma_f32 v114, v114, s64, -v53                            // 0000000065A8: D1CB0072 84D48172
	v_fma_f32 v115, v115, s64, -v53                            // 0000000065B0: D1CB0073 84D48173
	v_fma_f32 v116, v116, s64, -v53                            // 0000000065B8: D1CB0074 84D48174
	v_fma_f32 v117, v117, s64, -v53                            // 0000000065C0: D1CB0075 84D48175
	v_fma_f32 v118, v118, s64, -v53                            // 0000000065C8: D1CB0076 84D48176
	v_fma_f32 v119, v119, s64, -v53                            // 0000000065D0: D1CB0077 84D48177
	v_fma_f32 v120, v120, s64, -v53                            // 0000000065D8: D1CB0078 84D48178
	v_fma_f32 v121, v121, s64, -v53                            // 0000000065E0: D1CB0079 84D48179
	v_fma_f32 v122, v122, s64, -v53                            // 0000000065E8: D1CB007A 84D4817A
	v_fma_f32 v123, v123, s64, -v53                            // 0000000065F0: D1CB007B 84D4817B
	v_fma_f32 v124, v124, s64, -v53                            // 0000000065F8: D1CB007C 84D4817C
	v_fma_f32 v125, v125, s64, -v53                            // 000000006600: D1CB007D 84D4817D
	v_fma_f32 v126, v126, s64, -v53                            // 000000006608: D1CB007E 84D4817E
	v_fma_f32 v127, v127, s64, -v53                            // 000000006610: D1CB007F 84D4817F
	v_exp_f32_e32 v112, v112                                   // 000000006618: 7EE04170
	v_exp_f32_e32 v113, v113                                   // 00000000661C: 7EE24171
	v_exp_f32_e32 v114, v114                                   // 000000006620: 7EE44172
	v_exp_f32_e32 v115, v115                                   // 000000006624: 7EE64173
	v_exp_f32_e32 v116, v116                                   // 000000006628: 7EE84174
	v_exp_f32_e32 v117, v117                                   // 00000000662C: 7EEA4175
	v_exp_f32_e32 v118, v118                                   // 000000006630: 7EEC4176
	v_exp_f32_e32 v119, v119                                   // 000000006634: 7EEE4177
	v_exp_f32_e32 v120, v120                                   // 000000006638: 7EF04178
	v_exp_f32_e32 v121, v121                                   // 00000000663C: 7EF24179
	v_exp_f32_e32 v122, v122                                   // 000000006640: 7EF4417A
	v_exp_f32_e32 v123, v123                                   // 000000006644: 7EF6417B
	v_exp_f32_e32 v124, v124                                   // 000000006648: 7EF8417C
	v_exp_f32_e32 v125, v125                                   // 00000000664C: 7EFA417D
	v_exp_f32_e32 v126, v126                                   // 000000006650: 7EFC417E
	v_exp_f32_e32 v127, v127                                   // 000000006654: 7EFE417F
	buffer_load_dwordx4 a[196:199], v201, s[20:23], 0 offen    // 000000006658: E05C1000 8085C4C9
	v_mul_f32_e32 v43, v51, v43                                // 000000006660: 0A565733
	v_mov_b32_e32 v45, v112                                    // 000000006664: 7E5A0370
	v_add_f32_e32 v45, v113, v45                               // 000000006668: 025A5B71
	v_add_f32_e32 v45, v114, v45                               // 00000000666C: 025A5B72
	v_add_f32_e32 v45, v115, v45                               // 000000006670: 025A5B73
	v_add_f32_e32 v45, v116, v45                               // 000000006674: 025A5B74
	v_add_f32_e32 v45, v117, v45                               // 000000006678: 025A5B75
	v_add_f32_e32 v45, v118, v45                               // 00000000667C: 025A5B76
	v_add_f32_e32 v45, v119, v45                               // 000000006680: 025A5B77
	v_add_f32_e32 v45, v120, v45                               // 000000006684: 025A5B78
	v_add_f32_e32 v45, v121, v45                               // 000000006688: 025A5B79
	v_add_f32_e32 v45, v122, v45                               // 00000000668C: 025A5B7A
	v_add_f32_e32 v45, v123, v45                               // 000000006690: 025A5B7B
	v_add_f32_e32 v45, v124, v45                               // 000000006694: 025A5B7C
	v_add_f32_e32 v45, v125, v45                               // 000000006698: 025A5B7D
	v_add_f32_e32 v45, v126, v45                               // 00000000669C: 025A5B7E
	v_add_f32_e32 v45, v127, v45                               // 0000000066A0: 025A5B7F
	v_add_f32_e32 v43, v45, v43                                // 0000000066A4: 0256572D
	buffer_load_dwordx4 a[200:203], v202, s[20:23], 0 offen    // 0000000066A8: E05C1000 8085C8CA
	v_cvt_pkrtz_f16_f32 v39, v112, v113                        // 0000000066B0: D2960027 0002E370
	v_mov_b32_e32 v112, v39                                    // 0000000066B8: 7EE00327
	v_cvt_pkrtz_f16_f32 v39, v114, v115                        // 0000000066BC: D2960027 0002E772
	v_mov_b32_e32 v113, v39                                    // 0000000066C4: 7EE20327
	v_cvt_pkrtz_f16_f32 v39, v116, v117                        // 0000000066C8: D2960027 0002EB74
	v_mov_b32_e32 v114, v39                                    // 0000000066D0: 7EE40327
	v_cvt_pkrtz_f16_f32 v39, v118, v119                        // 0000000066D4: D2960027 0002EF76
	v_mov_b32_e32 v115, v39                                    // 0000000066DC: 7EE60327
	v_cvt_pkrtz_f16_f32 v39, v120, v121                        // 0000000066E0: D2960027 0002F378
	v_mov_b32_e32 v116, v39                                    // 0000000066E8: 7EE80327
	v_cvt_pkrtz_f16_f32 v39, v122, v123                        // 0000000066EC: D2960027 0002F77A
	v_mov_b32_e32 v117, v39                                    // 0000000066F4: 7EEA0327
	v_cvt_pkrtz_f16_f32 v39, v124, v125                        // 0000000066F8: D2960027 0002FB7C
	v_mov_b32_e32 v118, v39                                    // 000000006700: 7EEC0327
	v_cvt_pkrtz_f16_f32 v39, v126, v127                        // 000000006704: D2960027 0002FF7E
	v_mov_b32_e32 v119, v39                                    // 00000000670C: 7EEE0327
	buffer_load_dwordx4 a[204:207], v203, s[20:23], 0 offen    // 000000006710: E05C1000 8085CCCB
	buffer_load_dwordx4 a[208:211], v204, s[20:23], 0 offen    // 000000006718: E05C1000 8085D0CC
	ds_write_b64 v13, v[112:113] offset:4096                   // 000000006720: D89A1000 0000700D
	ds_write_b64 v13, v[114:115] offset:6144                   // 000000006728: D89A1800 0000720D
	ds_write_b64 v13, v[116:117] offset:8192                   // 000000006730: D89A2000 0000740D
	ds_write_b64 v13, v[118:119] offset:10240                  // 000000006738: D89A2800 0000760D
	buffer_load_dwordx4 a[212:215], v205, s[20:23], 0 offen    // 000000006740: E05C1000 8085D4CD
	s_waitcnt lgkmcnt(0)                                       // 000000006748: BF8CC07F
	s_barrier                                                  // 00000000674C: BF8A0000
	ds_read_b64 v[112:113], v12 offset:4096                    // 000000006750: D8EC1000 7000000C
	ds_read_b64 v[114:115], v12 offset:4224                    // 000000006758: D8EC1080 7200000C
	ds_read_b64 v[116:117], v12 offset:5120                    // 000000006760: D8EC1400 7400000C
	ds_read_b64 v[118:119], v12 offset:5248                    // 000000006768: D8EC1480 7600000C
	ds_read_b64 v[120:121], v12 offset:6144                    // 000000006770: D8EC1800 7800000C
	ds_read_b64 v[122:123], v12 offset:6272                    // 000000006778: D8EC1880 7A00000C
	ds_read_b64 v[124:125], v12 offset:7168                    // 000000006780: D8EC1C00 7C00000C
	ds_read_b64 v[126:127], v12 offset:7296                    // 000000006788: D8EC1C80 7E00000C
	ds_read_b64 v[128:129], v12 offset:8192                    // 000000006790: D8EC2000 8000000C
	ds_read_b64 v[130:131], v12 offset:8320                    // 000000006798: D8EC2080 8200000C
	ds_read_b64 v[132:133], v12 offset:9216                    // 0000000067A0: D8EC2400 8400000C
	ds_read_b64 v[134:135], v12 offset:9344                    // 0000000067A8: D8EC2480 8600000C
	ds_read_b64 v[136:137], v12 offset:10240                   // 0000000067B0: D8EC2800 8800000C
	ds_read_b64 v[138:139], v12 offset:10368                   // 0000000067B8: D8EC2880 8A00000C
	ds_read_b64 v[140:141], v12 offset:11264                   // 0000000067C0: D8EC2C00 8C00000C
	ds_read_b64 v[142:143], v12 offset:11392                   // 0000000067C8: D8EC2C80 8E00000C
	buffer_load_dwordx4 a[216:219], v206, s[20:23], 0 offen    // 0000000067D0: E05C1000 8085D8CE
	buffer_load_dwordx4 a[220:223], v207, s[20:23], 0 offen    // 0000000067D8: E05C1000 8085DCCF
	s_waitcnt lgkmcnt(0)                                       // 0000000067E0: BF8CC07F
	v_mul_f32_e32 v176, v51, v176                              // 0000000067E4: 0B616133
	v_mul_f32_e32 v177, v51, v177                              // 0000000067E8: 0B636333
	v_mul_f32_e32 v178, v51, v178                              // 0000000067EC: 0B656533
	v_mul_f32_e32 v179, v51, v179                              // 0000000067F0: 0B676733
	v_mul_f32_e32 v180, v51, v180                              // 0000000067F4: 0B696933
	v_mul_f32_e32 v181, v51, v181                              // 0000000067F8: 0B6B6B33
	v_mul_f32_e32 v182, v51, v182                              // 0000000067FC: 0B6D6D33
	v_mul_f32_e32 v183, v51, v183                              // 000000006800: 0B6F6F33
	s_waitcnt vmcnt(24)                                        // 000000006804: BF8C4F78
	v_mfma_f32_16x16x16_f16 v[176:179], a[128:129], v[112:113], v[176:179]// 000000006808: D3CD00B0 0EC2E180
	v_mfma_f32_16x16x16_f16 v[176:179], a[130:131], v[114:115], v[176:179]// 000000006810: D3CD00B0 0EC2E582
	buffer_load_dwordx4 a[224:227], v200, s[20:23], 0 offen offset:1024// 000000006818: E05C1400 8085E0C8
	v_mfma_f32_16x16x16_f16 v[176:179], a[132:133], v[116:117], v[176:179]// 000000006820: D3CD00B0 0EC2E984
	v_mfma_f32_16x16x16_f16 v[176:179], a[134:135], v[118:119], v[176:179]// 000000006828: D3CD00B0 0EC2ED86
	v_mfma_f32_16x16x16_f16 v[176:179], a[136:137], v[120:121], v[176:179]// 000000006830: D3CD00B0 0EC2F188
	v_mfma_f32_16x16x16_f16 v[176:179], a[138:139], v[122:123], v[176:179]// 000000006838: D3CD00B0 0EC2F58A
	buffer_load_dwordx4 a[228:231], v201, s[20:23], 0 offen offset:1024// 000000006840: E05C1400 8085E4C9
	v_mfma_f32_16x16x16_f16 v[176:179], a[140:141], v[124:125], v[176:179]// 000000006848: D3CD00B0 0EC2F98C
	v_mfma_f32_16x16x16_f16 v[176:179], a[142:143], v[126:127], v[176:179]// 000000006850: D3CD00B0 0EC2FD8E
	v_mfma_f32_16x16x16_f16 v[176:179], a[144:145], v[128:129], v[176:179]// 000000006858: D3CD00B0 0EC30190
	v_mfma_f32_16x16x16_f16 v[176:179], a[146:147], v[130:131], v[176:179]// 000000006860: D3CD00B0 0EC30592
	buffer_load_dwordx4 a[232:235], v202, s[20:23], 0 offen offset:1024// 000000006868: E05C1400 8085E8CA
	v_mfma_f32_16x16x16_f16 v[176:179], a[148:149], v[132:133], v[176:179]// 000000006870: D3CD00B0 0EC30994
	v_mfma_f32_16x16x16_f16 v[176:179], a[150:151], v[134:135], v[176:179]// 000000006878: D3CD00B0 0EC30D96
	v_mfma_f32_16x16x16_f16 v[176:179], a[152:153], v[136:137], v[176:179]// 000000006880: D3CD00B0 0EC31198
	v_mfma_f32_16x16x16_f16 v[176:179], a[154:155], v[138:139], v[176:179]// 000000006888: D3CD00B0 0EC3159A
	buffer_load_dwordx4 a[236:239], v203, s[20:23], 0 offen offset:1024// 000000006890: E05C1400 8085ECCB
	v_mfma_f32_16x16x16_f16 v[176:179], a[156:157], v[140:141], v[176:179]// 000000006898: D3CD00B0 0EC3199C
	v_mfma_f32_16x16x16_f16 v[176:179], a[158:159], v[142:143], v[176:179]// 0000000068A0: D3CD00B0 0EC31D9E
	v_mfma_f32_16x16x16_f16 v[180:183], a[160:161], v[112:113], v[180:183]// 0000000068A8: D3CD00B4 0ED2E1A0
	v_mfma_f32_16x16x16_f16 v[180:183], a[162:163], v[114:115], v[180:183]// 0000000068B0: D3CD00B4 0ED2E5A2
	buffer_load_dwordx4 a[240:243], v204, s[20:23], 0 offen offset:1024// 0000000068B8: E05C1400 8085F0CC
	v_mfma_f32_16x16x16_f16 v[180:183], a[164:165], v[116:117], v[180:183]// 0000000068C0: D3CD00B4 0ED2E9A4
	v_mfma_f32_16x16x16_f16 v[180:183], a[166:167], v[118:119], v[180:183]// 0000000068C8: D3CD00B4 0ED2EDA6
	v_mfma_f32_16x16x16_f16 v[180:183], a[168:169], v[120:121], v[180:183]// 0000000068D0: D3CD00B4 0ED2F1A8
	v_mfma_f32_16x16x16_f16 v[180:183], a[170:171], v[122:123], v[180:183]// 0000000068D8: D3CD00B4 0ED2F5AA
	buffer_load_dwordx4 a[244:247], v205, s[20:23], 0 offen offset:1024// 0000000068E0: E05C1400 8085F4CD
	v_mfma_f32_16x16x16_f16 v[180:183], a[172:173], v[124:125], v[180:183]// 0000000068E8: D3CD00B4 0ED2F9AC
	v_mfma_f32_16x16x16_f16 v[180:183], a[174:175], v[126:127], v[180:183]// 0000000068F0: D3CD00B4 0ED2FDAE
	v_mfma_f32_16x16x16_f16 v[180:183], a[176:177], v[128:129], v[180:183]// 0000000068F8: D3CD00B4 0ED301B0
	v_mfma_f32_16x16x16_f16 v[180:183], a[178:179], v[130:131], v[180:183]// 000000006900: D3CD00B4 0ED305B2
	buffer_load_dwordx4 a[248:251], v206, s[20:23], 0 offen offset:1024// 000000006908: E05C1400 8085F8CE
	v_mfma_f32_16x16x16_f16 v[180:183], a[180:181], v[132:133], v[180:183]// 000000006910: D3CD00B4 0ED309B4
	v_mfma_f32_16x16x16_f16 v[180:183], a[182:183], v[134:135], v[180:183]// 000000006918: D3CD00B4 0ED30DB6
	v_mfma_f32_16x16x16_f16 v[180:183], a[184:185], v[136:137], v[180:183]// 000000006920: D3CD00B4 0ED311B8
	v_mfma_f32_16x16x16_f16 v[180:183], a[186:187], v[138:139], v[180:183]// 000000006928: D3CD00B4 0ED315BA
	buffer_load_dwordx4 a[252:255], v207, s[20:23], 0 offen offset:1024// 000000006930: E05C1400 8085FCCF
	v_mfma_f32_16x16x16_f16 v[180:183], a[188:189], v[140:141], v[180:183]// 000000006938: D3CD00B4 0ED319BC
	v_mfma_f32_16x16x16_f16 v[180:183], a[190:191], v[142:143], v[180:183]// 000000006940: D3CD00B4 0ED31DBE
	s_lshr_b32 s60, s70, 4                                     // 000000006948: 8F3C8446
	s_add_u32 s60, 48, s60                                     // 00000000694C: 803C3CB0
	s_cmp_ge_u32 s60, s73                                      // 000000006950: BF09493C
	s_cselect_b32 s56, 0, s56                                  // 000000006954: 85383880
	v_mul_u32_u24_dpp v39, v17, v54 row_newbcast:0 row_mask:0xf bank_mask:0xf// 000000006958: 104E6CFA FF015011
	v_mul_u32_u24_dpp v40, v17, v54 row_newbcast:4 row_mask:0xf bank_mask:0xf// 000000006960: 10506CFA FF015411
	v_mul_u32_u24_dpp v41, v17, v54 row_newbcast:8 row_mask:0xf bank_mask:0xf// 000000006968: 10526CFA FF015811
	v_mul_u32_u24_dpp v42, v17, v54 row_newbcast:12 row_mask:0xf bank_mask:0xf// 000000006970: 10546CFA FF015C11
	v_add_u32_e32 v23, v39, v6                                 // 000000006978: 682E0D27
	v_add_u32_e32 v24, v40, v6                                 // 00000000697C: 68300D28
	v_add_u32_e32 v25, v41, v6                                 // 000000006980: 68320D29
	v_add_u32_e32 v26, v42, v6                                 // 000000006984: 68340D2A
	v_mul_u32_u24_dpp v39, v17, v54 row_newbcast:1 row_mask:0xf bank_mask:0xf// 000000006988: 104E6CFA FF015111
	v_mul_u32_u24_dpp v40, v17, v54 row_newbcast:2 row_mask:0xf bank_mask:0xf// 000000006990: 10506CFA FF015211
	v_mul_u32_u24_dpp v41, v17, v54 row_newbcast:5 row_mask:0xf bank_mask:0xf// 000000006998: 10526CFA FF015511
	v_mul_u32_u24_dpp v42, v17, v54 row_newbcast:6 row_mask:0xf bank_mask:0xf// 0000000069A0: 10546CFA FF015611
	v_add_u32_e32 v192, v39, v7                                // 0000000069A8: 69800F27
	v_add_u32_e32 v193, v40, v7                                // 0000000069AC: 69820F28
	v_add_u32_e32 v194, v41, v7                                // 0000000069B0: 69840F29
	v_add_u32_e32 v195, v42, v7                                // 0000000069B4: 69860F2A
	v_mul_u32_u24_dpp v39, v17, v54 row_newbcast:9 row_mask:0xf bank_mask:0xf// 0000000069B8: 104E6CFA FF015911
	v_mul_u32_u24_dpp v40, v17, v54 row_newbcast:10 row_mask:0xf bank_mask:0xf// 0000000069C0: 10506CFA FF015A11
	v_mul_u32_u24_dpp v41, v17, v54 row_newbcast:13 row_mask:0xf bank_mask:0xf// 0000000069C8: 10526CFA FF015D11
	v_mul_u32_u24_dpp v42, v17, v54 row_newbcast:7 row_mask:0xf bank_mask:0xf// 0000000069D0: 10546CFA FF015711
	v_add_u32_e32 v196, v39, v7                                // 0000000069D8: 69880F27
	v_add_u32_e32 v197, v40, v7                                // 0000000069DC: 698A0F28
	v_add_u32_e32 v198, v41, v7                                // 0000000069E0: 698C0F29
	v_add_u32_e32 v199, v42, v7                                // 0000000069E4: 698E0F2A
	v_add_u32_e32 v1, s56, v1                                  // 0000000069E8: 68020238
	s_addk_i32 s70, 0x100                                      // 0000000069EC: B7460100
	s_cmp_lt_i32 s70, s71                                      // 0000000069F0: BF044746
	s_cbranch_scc0 label_1446                                  // 0000000069F4: BF840247
	s_waitcnt vmcnt(16) lgkmcnt(0)                             // 0000000069F8: BF8C4070
	v_mfma_f32_16x16x16_f16 v[112:115], a[64:65], v[80:81], 0  // 0000000069FC: D3CD0070 0A02A140
	v_mfma_f32_16x16x16_f16 v[112:115], a[66:67], v[82:83], v[112:115]// 000000006A04: D3CD0070 0DC2A542
	buffer_load_dwordx4 a[0:3], v23, s[16:19], 0 offen         // 000000006A0C: E05C1000 80840017
	v_mfma_f32_16x16x16_f16 v[112:115], a[68:69], v[84:85], v[112:115]// 000000006A14: D3CD0070 0DC2A944
	v_mfma_f32_16x16x16_f16 v[112:115], a[70:71], v[86:87], v[112:115]// 000000006A1C: D3CD0070 0DC2AD46
	buffer_load_dword v18, v1, s[24:27], 0 offen               // 000000006A24: E0501000 80061201
	v_mfma_f32_16x16x16_f16 v[112:115], a[72:73], v[88:89], v[112:115]// 000000006A2C: D3CD0070 0DC2B148
	v_mfma_f32_16x16x16_f16 v[112:115], a[74:75], v[90:91], v[112:115]// 000000006A34: D3CD0070 0DC2B54A
	buffer_load_dwordx4 a[4:7], v23, s[16:19], 0 offen offset:1024// 000000006A3C: E05C1400 80840417
	v_mfma_f32_16x16x16_f16 v[112:115], a[76:77], v[92:93], v[112:115]// 000000006A44: D3CD0070 0DC2B94C
	v_mfma_f32_16x16x16_f16 v[112:115], a[78:79], v[94:95], v[112:115]// 000000006A4C: D3CD0070 0DC2BD4E
	v_mfma_f32_16x16x16_f16 v[116:119], a[80:81], v[80:81], 0  // 000000006A54: D3CD0074 0A02A150
	v_mfma_f32_16x16x16_f16 v[116:119], a[82:83], v[82:83], v[116:119]// 000000006A5C: D3CD0074 0DD2A552
	buffer_load_dwordx4 a[8:11], v23, s[16:19], 0 offen offset:2048// 000000006A64: E05C1800 80840817
	v_mfma_f32_16x16x16_f16 v[116:119], a[84:85], v[84:85], v[116:119]// 000000006A6C: D3CD0074 0DD2A954
	v_mfma_f32_16x16x16_f16 v[116:119], a[86:87], v[86:87], v[116:119]// 000000006A74: D3CD0074 0DD2AD56
	v_mfma_f32_16x16x16_f16 v[116:119], a[88:89], v[88:89], v[116:119]// 000000006A7C: D3CD0074 0DD2B158
	v_mfma_f32_16x16x16_f16 v[116:119], a[90:91], v[90:91], v[116:119]// 000000006A84: D3CD0074 0DD2B55A
	buffer_load_dwordx4 a[12:15], v23, s[16:19], 0 offen offset:3072// 000000006A8C: E05C1C00 80840C17
	v_mfma_f32_16x16x16_f16 v[116:119], a[92:93], v[92:93], v[116:119]// 000000006A94: D3CD0074 0DD2B95C
	v_mfma_f32_16x16x16_f16 v[116:119], a[94:95], v[94:95], v[116:119]// 000000006A9C: D3CD0074 0DD2BD5E
	v_mfma_f32_16x16x16_f16 v[120:123], a[96:97], v[80:81], 0  // 000000006AA4: D3CD0078 0A02A160
	v_mfma_f32_16x16x16_f16 v[120:123], a[98:99], v[82:83], v[120:123]// 000000006AAC: D3CD0078 0DE2A562
	buffer_load_dwordx4 a[16:19], v24, s[16:19], 0 offen       // 000000006AB4: E05C1000 80841018
	v_mfma_f32_16x16x16_f16 v[120:123], a[100:101], v[84:85], v[120:123]// 000000006ABC: D3CD0078 0DE2A964
	v_mfma_f32_16x16x16_f16 v[120:123], a[102:103], v[86:87], v[120:123]// 000000006AC4: D3CD0078 0DE2AD66
	v_mfma_f32_16x16x16_f16 v[120:123], a[104:105], v[88:89], v[120:123]// 000000006ACC: D3CD0078 0DE2B168
	v_mfma_f32_16x16x16_f16 v[120:123], a[106:107], v[90:91], v[120:123]// 000000006AD4: D3CD0078 0DE2B56A
	buffer_load_dwordx4 a[20:23], v24, s[16:19], 0 offen offset:1024// 000000006ADC: E05C1400 80841418
	v_mfma_f32_16x16x16_f16 v[120:123], a[108:109], v[92:93], v[120:123]// 000000006AE4: D3CD0078 0DE2B96C
	v_mfma_f32_16x16x16_f16 v[120:123], a[110:111], v[94:95], v[120:123]// 000000006AEC: D3CD0078 0DE2BD6E
	v_mfma_f32_16x16x16_f16 v[124:127], a[112:113], v[80:81], 0// 000000006AF4: D3CD007C 0A02A170
	v_mfma_f32_16x16x16_f16 v[124:127], a[114:115], v[82:83], v[124:127]// 000000006AFC: D3CD007C 0DF2A572
	buffer_load_dwordx4 a[24:27], v24, s[16:19], 0 offen offset:2048// 000000006B04: E05C1800 80841818
	v_mfma_f32_16x16x16_f16 v[124:127], a[116:117], v[84:85], v[124:127]// 000000006B0C: D3CD007C 0DF2A974
	v_mfma_f32_16x16x16_f16 v[124:127], a[118:119], v[86:87], v[124:127]// 000000006B14: D3CD007C 0DF2AD76
	v_mfma_f32_16x16x16_f16 v[124:127], a[120:121], v[88:89], v[124:127]// 000000006B1C: D3CD007C 0DF2B178
	v_mfma_f32_16x16x16_f16 v[124:127], a[122:123], v[90:91], v[124:127]// 000000006B24: D3CD007C 0DF2B57A
	buffer_load_dwordx4 a[28:31], v24, s[16:19], 0 offen offset:3072// 000000006B2C: E05C1C00 80841C18
	v_mfma_f32_16x16x16_f16 v[124:127], a[124:125], v[92:93], v[124:127]// 000000006B34: D3CD007C 0DF2B97C
	v_mfma_f32_16x16x16_f16 v[124:127], a[126:127], v[94:95], v[124:127]// 000000006B3C: D3CD007C 0DF2BD7E
	s_cmp_le_i32 s90, s89                                      // 000000006B44: BF05595A
	s_cbranch_scc1 label_12C7                                  // 000000006B48: BF850073
	v_mov_b32_e32 v55, 0xff800000                              // 000000006B4C: 7E6E02FF FF800000
	s_mov_b32 s60, s90                                         // 000000006B54: BEBC005A
	s_add_u32 s61, s89, 0xff                                   // 000000006B58: 803DFF59 000000FF
	v_mov_b32_e32 v39, s61                                     // 000000006B60: 7E4E023D
	v_lshrrev_b32_e32 v31, 4, v0                               // 000000006B64: 203E0084
	v_mul_i32_i24_e32 v31, 4, v31                              // 000000006B68: 0C3E3E84
	v_add_u32_e32 v31, s60, v31                                // 000000006B6C: 683E3E3C
	v_and_b32_e32 v40, 15, v0                                  // 000000006B70: 2650008F
	v_lshrrev_b32_e32 v40, 3, v40                              // 000000006B74: 20505083
	s_mov_b32 s61, 0                                           // 000000006B78: BEBD0080
	s_mul_i32 s60, 16, s7                                      // 000000006B7C: 923C0790
	v_add_u32_e32 v40, s61, v40                                // 000000006B80: 6850503D
	v_sub_u32_e32 v31, v31, v40                                // 000000006B84: 6A3E511F
	v_add_u32_e32 v31, s60, v31                                // 000000006B88: 683E3E3C
	v_add_u32_e32 v32, 1, v31                                  // 000000006B8C: 68403E81
	v_add_u32_e32 v33, 2, v31                                  // 000000006B90: 68423E82
	v_add_u32_e32 v34, 3, v31                                  // 000000006B94: 68443E83
	v_cmp_le_u32_e64 s[40:41], v31, v39                        // 000000006B98: D0CB0028 00024F1F
	v_add_u32_e32 v31, 64, v31                                 // 000000006BA0: 683E3EC0
	s_nop 0                                                    // 000000006BA4: BF800000
	v_cndmask_b32_e64 v112, v55, v112, s[40:41]                // 000000006BA8: D1000070 00A2E137
	v_cmp_le_u32_e64 s[40:41], v32, v39                        // 000000006BB0: D0CB0028 00024F20
	v_add_u32_e32 v32, 64, v32                                 // 000000006BB8: 684040C0
	s_nop 0                                                    // 000000006BBC: BF800000
	v_cndmask_b32_e64 v113, v55, v113, s[40:41]                // 000000006BC0: D1000071 00A2E337
	v_cmp_le_u32_e64 s[40:41], v33, v39                        // 000000006BC8: D0CB0028 00024F21
	v_add_u32_e32 v33, 64, v33                                 // 000000006BD0: 684242C0
	s_nop 0                                                    // 000000006BD4: BF800000
	v_cndmask_b32_e64 v114, v55, v114, s[40:41]                // 000000006BD8: D1000072 00A2E537
	v_cmp_le_u32_e64 s[40:41], v34, v39                        // 000000006BE0: D0CB0028 00024F22
	v_add_u32_e32 v34, 64, v34                                 // 000000006BE8: 684444C0
	s_nop 0                                                    // 000000006BEC: BF800000
	v_cndmask_b32_e64 v115, v55, v115, s[40:41]                // 000000006BF0: D1000073 00A2E737
	v_cmp_le_u32_e64 s[40:41], v31, v39                        // 000000006BF8: D0CB0028 00024F1F
	v_add_u32_e32 v31, 64, v31                                 // 000000006C00: 683E3EC0
	s_nop 0                                                    // 000000006C04: BF800000
	v_cndmask_b32_e64 v116, v55, v116, s[40:41]                // 000000006C08: D1000074 00A2E937
	v_cmp_le_u32_e64 s[40:41], v32, v39                        // 000000006C10: D0CB0028 00024F20
	v_add_u32_e32 v32, 64, v32                                 // 000000006C18: 684040C0
	s_nop 0                                                    // 000000006C1C: BF800000
	v_cndmask_b32_e64 v117, v55, v117, s[40:41]                // 000000006C20: D1000075 00A2EB37
	v_cmp_le_u32_e64 s[40:41], v33, v39                        // 000000006C28: D0CB0028 00024F21
	v_add_u32_e32 v33, 64, v33                                 // 000000006C30: 684242C0
	s_nop 0                                                    // 000000006C34: BF800000
	v_cndmask_b32_e64 v118, v55, v118, s[40:41]                // 000000006C38: D1000076 00A2ED37
	v_cmp_le_u32_e64 s[40:41], v34, v39                        // 000000006C40: D0CB0028 00024F22
	v_add_u32_e32 v34, 64, v34                                 // 000000006C48: 684444C0
	s_nop 0                                                    // 000000006C4C: BF800000
	v_cndmask_b32_e64 v119, v55, v119, s[40:41]                // 000000006C50: D1000077 00A2EF37
	v_cmp_le_u32_e64 s[40:41], v31, v39                        // 000000006C58: D0CB0028 00024F1F
	v_add_u32_e32 v31, 64, v31                                 // 000000006C60: 683E3EC0
	s_nop 0                                                    // 000000006C64: BF800000
	v_cndmask_b32_e64 v120, v55, v120, s[40:41]                // 000000006C68: D1000078 00A2F137
	v_cmp_le_u32_e64 s[40:41], v32, v39                        // 000000006C70: D0CB0028 00024F20
	v_add_u32_e32 v32, 64, v32                                 // 000000006C78: 684040C0
	s_nop 0                                                    // 000000006C7C: BF800000
	v_cndmask_b32_e64 v121, v55, v121, s[40:41]                // 000000006C80: D1000079 00A2F337
	v_cmp_le_u32_e64 s[40:41], v33, v39                        // 000000006C88: D0CB0028 00024F21
	v_add_u32_e32 v33, 64, v33                                 // 000000006C90: 684242C0
	s_nop 0                                                    // 000000006C94: BF800000
	v_cndmask_b32_e64 v122, v55, v122, s[40:41]                // 000000006C98: D100007A 00A2F537
	v_cmp_le_u32_e64 s[40:41], v34, v39                        // 000000006CA0: D0CB0028 00024F22
	v_add_u32_e32 v34, 64, v34                                 // 000000006CA8: 684444C0
	s_nop 0                                                    // 000000006CAC: BF800000
	v_cndmask_b32_e64 v123, v55, v123, s[40:41]                // 000000006CB0: D100007B 00A2F737
	v_cmp_le_u32_e64 s[40:41], v31, v39                        // 000000006CB8: D0CB0028 00024F1F
	v_add_u32_e32 v31, 64, v31                                 // 000000006CC0: 683E3EC0
	s_nop 0                                                    // 000000006CC4: BF800000
	v_cndmask_b32_e64 v124, v55, v124, s[40:41]                // 000000006CC8: D100007C 00A2F937
	v_cmp_le_u32_e64 s[40:41], v32, v39                        // 000000006CD0: D0CB0028 00024F20
	v_add_u32_e32 v32, 64, v32                                 // 000000006CD8: 684040C0
	s_nop 0                                                    // 000000006CDC: BF800000
	v_cndmask_b32_e64 v125, v55, v125, s[40:41]                // 000000006CE0: D100007D 00A2FB37
	v_cmp_le_u32_e64 s[40:41], v33, v39                        // 000000006CE8: D0CB0028 00024F21
	v_add_u32_e32 v33, 64, v33                                 // 000000006CF0: 684242C0
	s_nop 0                                                    // 000000006CF4: BF800000
	v_cndmask_b32_e64 v126, v55, v126, s[40:41]                // 000000006CF8: D100007E 00A2FD37
	v_cmp_le_u32_e64 s[40:41], v34, v39                        // 000000006D00: D0CB0028 00024F22
	v_add_u32_e32 v34, 64, v34                                 // 000000006D08: 684444C0
	s_nop 0                                                    // 000000006D0C: BF800000
	v_cndmask_b32_e64 v127, v55, v127, s[40:41]                // 000000006D10: D100007F 00A2FF37

0000000000006d18 <label_12C7>:
	s_add_u32 s90, s91, s90                                    // 000000006D18: 805A5A5B
	s_nop 0                                                    // 000000006D1C: BF800000
	buffer_load_dwordx4 a[32:35], v25, s[16:19], 0 offen       // 000000006D20: E05C1000 80842019
	s_nop 8                                                    // 000000006D28: BF800008
	buffer_load_dwordx4 a[36:39], v25, s[16:19], 0 offen offset:1024// 000000006D2C: E05C1400 80842419
	v_mov_b32_e32 v50, v112                                    // 000000006D34: 7E640370
	v_max3_f32 v50, v112, v113, v50                            // 000000006D38: D1D30032 04CAE370
	v_max3_f32 v50, v114, v115, v50                            // 000000006D40: D1D30032 04CAE772
	v_max3_f32 v50, v116, v117, v50                            // 000000006D48: D1D30032 04CAEB74
	v_max3_f32 v50, v118, v119, v50                            // 000000006D50: D1D30032 04CAEF76
	v_max3_f32 v50, v120, v121, v50                            // 000000006D58: D1D30032 04CAF378
	v_max3_f32 v50, v122, v123, v50                            // 000000006D60: D1D30032 04CAF77A
	v_max3_f32 v50, v124, v125, v50                            // 000000006D68: D1D30032 04CAFB7C
	v_max3_f32 v50, v126, v127, v50                            // 000000006D70: D1D30032 04CAFF7E
	ds_write_b32 v11, v50                                      // 000000006D78: D81A0000 0000320B
	buffer_load_dwordx4 a[40:43], v25, s[16:19], 0 offen offset:2048// 000000006D80: E05C1800 80842819
	s_waitcnt lgkmcnt(0)                                       // 000000006D88: BF8CC07F
	s_barrier                                                  // 000000006D8C: BF8A0000
	ds_read_b32 v64, v10                                       // 000000006D90: D86C0000 4000000A
	buffer_load_dwordx4 a[44:47], v25, s[16:19], 0 offen offset:3072// 000000006D98: E05C1C00 80842C19
	ds_read_b32 v65, v10 offset:64                             // 000000006DA0: D86C0040 4100000A
	ds_read_b32 v66, v10 offset:128                            // 000000006DA8: D86C0080 4200000A
	ds_read_b32 v67, v10 offset:192                            // 000000006DB0: D86C00C0 4300000A
	ds_read_b32 v68, v10 offset:256                            // 000000006DB8: D86C0100 4400000A
	ds_read_b32 v69, v10 offset:320                            // 000000006DC0: D86C0140 4500000A
	ds_read_b32 v70, v10 offset:384                            // 000000006DC8: D86C0180 4600000A
	ds_read_b32 v71, v10 offset:448                            // 000000006DD0: D86C01C0 4700000A
	ds_read_b32 v72, v10 offset:512                            // 000000006DD8: D86C0200 4800000A
	buffer_load_dwordx4 a[48:51], v26, s[16:19], 0 offen       // 000000006DE0: E05C1000 8084301A
	ds_read_b32 v73, v10 offset:576                            // 000000006DE8: D86C0240 4900000A
	ds_read_b32 v74, v10 offset:640                            // 000000006DF0: D86C0280 4A00000A
	ds_read_b32 v75, v10 offset:704                            // 000000006DF8: D86C02C0 4B00000A
	ds_read_b32 v76, v10 offset:768                            // 000000006E00: D86C0300 4C00000A
	ds_read_b32 v77, v10 offset:832                            // 000000006E08: D86C0340 4D00000A
	ds_read_b32 v78, v10 offset:896                            // 000000006E10: D86C0380 4E00000A
	ds_read_b32 v79, v10 offset:960                            // 000000006E18: D86C03C0 4F00000A
	buffer_load_dwordx4 a[52:55], v26, s[16:19], 0 offen offset:1024// 000000006E20: E05C1400 8084341A
	buffer_load_dwordx4 a[56:59], v26, s[16:19], 0 offen offset:2048// 000000006E28: E05C1800 8084381A
	s_waitcnt lgkmcnt(0)                                       // 000000006E30: BF8CC07F
	v_max3_f32 v50, v64, v65, v50                              // 000000006E34: D1D30032 04CA8340
	v_max3_f32 v50, v66, v67, v50                              // 000000006E3C: D1D30032 04CA8742
	v_max3_f32 v50, v68, v69, v50                              // 000000006E44: D1D30032 04CA8B44
	v_max3_f32 v50, v70, v71, v50                              // 000000006E4C: D1D30032 04CA8F46
	v_max3_f32 v50, v72, v73, v50                              // 000000006E54: D1D30032 04CA9348
	v_max3_f32 v50, v74, v75, v50                              // 000000006E5C: D1D30032 04CA974A
	v_max3_f32 v50, v76, v77, v50                              // 000000006E64: D1D30032 04CA9B4C
	v_max3_f32 v50, v78, v79, v50                              // 000000006E6C: D1D30032 04CA9F4E
	buffer_load_dwordx4 a[60:63], v26, s[16:19], 0 offen offset:3072// 000000006E74: E05C1C00 80843C1A
	v_cmp_eq_u32_e64 s[40:41], v55, v14                        // 000000006E7C: D0CA0028 00021D37
	s_nop 1                                                    // 000000006E84: BF800001
	v_max_f32_e32 v16, v50, v14                                // 000000006E88: 16201D32
	v_sub_f32_e32 v51, v14, v16                                // 000000006E8C: 0466210E
	v_cndmask_b32_e64 v51, v51, 0, s[40:41]                    // 000000006E90: D1000033 00A10133
	v_mov_b32_e32 v14, v16                                     // 000000006E98: 7E1C0310
	v_mul_f32_e32 v53, s64, v16                                // 000000006E9C: 0A6A2040
	v_mul_f32_e32 v51, s64, v51                                // 000000006EA0: 0A666640
	v_exp_f32_e32 v51, v51                                     // 000000006EA4: 7E664133
	buffer_load_dwordx4 a[128:131], v192, s[20:23], 0 offen    // 000000006EA8: E05C1000 808580C0
	v_fma_f32 v112, v112, s64, -v53                            // 000000006EB0: D1CB0070 84D48170
	v_fma_f32 v113, v113, s64, -v53                            // 000000006EB8: D1CB0071 84D48171
	v_fma_f32 v114, v114, s64, -v53                            // 000000006EC0: D1CB0072 84D48172
	v_fma_f32 v115, v115, s64, -v53                            // 000000006EC8: D1CB0073 84D48173
	v_fma_f32 v116, v116, s64, -v53                            // 000000006ED0: D1CB0074 84D48174
	v_fma_f32 v117, v117, s64, -v53                            // 000000006ED8: D1CB0075 84D48175
	v_fma_f32 v118, v118, s64, -v53                            // 000000006EE0: D1CB0076 84D48176
	v_fma_f32 v119, v119, s64, -v53                            // 000000006EE8: D1CB0077 84D48177
	v_fma_f32 v120, v120, s64, -v53                            // 000000006EF0: D1CB0078 84D48178
	v_fma_f32 v121, v121, s64, -v53                            // 000000006EF8: D1CB0079 84D48179
	v_fma_f32 v122, v122, s64, -v53                            // 000000006F00: D1CB007A 84D4817A
	v_fma_f32 v123, v123, s64, -v53                            // 000000006F08: D1CB007B 84D4817B
	v_fma_f32 v124, v124, s64, -v53                            // 000000006F10: D1CB007C 84D4817C
	v_fma_f32 v125, v125, s64, -v53                            // 000000006F18: D1CB007D 84D4817D
	v_fma_f32 v126, v126, s64, -v53                            // 000000006F20: D1CB007E 84D4817E
	v_fma_f32 v127, v127, s64, -v53                            // 000000006F28: D1CB007F 84D4817F
	v_exp_f32_e32 v112, v112                                   // 000000006F30: 7EE04170
	v_exp_f32_e32 v113, v113                                   // 000000006F34: 7EE24171
	v_exp_f32_e32 v114, v114                                   // 000000006F38: 7EE44172
	v_exp_f32_e32 v115, v115                                   // 000000006F3C: 7EE64173
	v_exp_f32_e32 v116, v116                                   // 000000006F40: 7EE84174
	v_exp_f32_e32 v117, v117                                   // 000000006F44: 7EEA4175
	v_exp_f32_e32 v118, v118                                   // 000000006F48: 7EEC4176
	v_exp_f32_e32 v119, v119                                   // 000000006F4C: 7EEE4177
	v_exp_f32_e32 v120, v120                                   // 000000006F50: 7EF04178
	v_exp_f32_e32 v121, v121                                   // 000000006F54: 7EF24179
	v_exp_f32_e32 v122, v122                                   // 000000006F58: 7EF4417A
	v_exp_f32_e32 v123, v123                                   // 000000006F5C: 7EF6417B
	v_exp_f32_e32 v124, v124                                   // 000000006F60: 7EF8417C
	v_exp_f32_e32 v125, v125                                   // 000000006F64: 7EFA417D
	v_exp_f32_e32 v126, v126                                   // 000000006F68: 7EFC417E
	v_exp_f32_e32 v127, v127                                   // 000000006F6C: 7EFE417F
	buffer_load_dwordx4 a[132:135], v193, s[20:23], 0 offen    // 000000006F70: E05C1000 808584C1
	v_mul_f32_e32 v43, v51, v43                                // 000000006F78: 0A565733
	v_mov_b32_e32 v45, v112                                    // 000000006F7C: 7E5A0370
	v_add_f32_e32 v45, v113, v45                               // 000000006F80: 025A5B71
	v_add_f32_e32 v45, v114, v45                               // 000000006F84: 025A5B72
	v_add_f32_e32 v45, v115, v45                               // 000000006F88: 025A5B73
	v_add_f32_e32 v45, v116, v45                               // 000000006F8C: 025A5B74
	v_add_f32_e32 v45, v117, v45                               // 000000006F90: 025A5B75
	v_add_f32_e32 v45, v118, v45                               // 000000006F94: 025A5B76
	v_add_f32_e32 v45, v119, v45                               // 000000006F98: 025A5B77
	v_add_f32_e32 v45, v120, v45                               // 000000006F9C: 025A5B78
	v_add_f32_e32 v45, v121, v45                               // 000000006FA0: 025A5B79
	v_add_f32_e32 v45, v122, v45                               // 000000006FA4: 025A5B7A
	v_add_f32_e32 v45, v123, v45                               // 000000006FA8: 025A5B7B
	v_add_f32_e32 v45, v124, v45                               // 000000006FAC: 025A5B7C
	v_add_f32_e32 v45, v125, v45                               // 000000006FB0: 025A5B7D
	v_add_f32_e32 v45, v126, v45                               // 000000006FB4: 025A5B7E
	v_add_f32_e32 v45, v127, v45                               // 000000006FB8: 025A5B7F
	v_add_f32_e32 v43, v45, v43                                // 000000006FBC: 0256572D
	buffer_load_dwordx4 a[136:139], v194, s[20:23], 0 offen    // 000000006FC0: E05C1000 808588C2
	v_cvt_pkrtz_f16_f32 v39, v112, v113                        // 000000006FC8: D2960027 0002E370
	v_mov_b32_e32 v112, v39                                    // 000000006FD0: 7EE00327
	v_cvt_pkrtz_f16_f32 v39, v114, v115                        // 000000006FD4: D2960027 0002E772
	v_mov_b32_e32 v113, v39                                    // 000000006FDC: 7EE20327
	v_cvt_pkrtz_f16_f32 v39, v116, v117                        // 000000006FE0: D2960027 0002EB74
	v_mov_b32_e32 v114, v39                                    // 000000006FE8: 7EE40327
	v_cvt_pkrtz_f16_f32 v39, v118, v119                        // 000000006FEC: D2960027 0002EF76
	v_mov_b32_e32 v115, v39                                    // 000000006FF4: 7EE60327
	v_cvt_pkrtz_f16_f32 v39, v120, v121                        // 000000006FF8: D2960027 0002F378
	v_mov_b32_e32 v116, v39                                    // 000000007000: 7EE80327
	v_cvt_pkrtz_f16_f32 v39, v122, v123                        // 000000007004: D2960027 0002F77A
	v_mov_b32_e32 v117, v39                                    // 00000000700C: 7EEA0327
	v_cvt_pkrtz_f16_f32 v39, v124, v125                        // 000000007010: D2960027 0002FB7C
	v_mov_b32_e32 v118, v39                                    // 000000007018: 7EEC0327
	v_cvt_pkrtz_f16_f32 v39, v126, v127                        // 00000000701C: D2960027 0002FF7E
	v_mov_b32_e32 v119, v39                                    // 000000007024: 7EEE0327
	buffer_load_dwordx4 a[140:143], v195, s[20:23], 0 offen    // 000000007028: E05C1000 80858CC3
	buffer_load_dwordx4 a[144:147], v196, s[20:23], 0 offen    // 000000007030: E05C1000 808590C4
	ds_write_b64 v13, v[112:113] offset:4096                   // 000000007038: D89A1000 0000700D
	ds_write_b64 v13, v[114:115] offset:6144                   // 000000007040: D89A1800 0000720D
	ds_write_b64 v13, v[116:117] offset:8192                   // 000000007048: D89A2000 0000740D
	ds_write_b64 v13, v[118:119] offset:10240                  // 000000007050: D89A2800 0000760D
	buffer_load_dwordx4 a[148:151], v197, s[20:23], 0 offen    // 000000007058: E05C1000 808594C5
	s_waitcnt lgkmcnt(0)                                       // 000000007060: BF8CC07F
	s_barrier                                                  // 000000007064: BF8A0000
	ds_read_b64 v[112:113], v12 offset:4096                    // 000000007068: D8EC1000 7000000C
	ds_read_b64 v[114:115], v12 offset:4224                    // 000000007070: D8EC1080 7200000C
	ds_read_b64 v[116:117], v12 offset:5120                    // 000000007078: D8EC1400 7400000C
	ds_read_b64 v[118:119], v12 offset:5248                    // 000000007080: D8EC1480 7600000C
	ds_read_b64 v[120:121], v12 offset:6144                    // 000000007088: D8EC1800 7800000C
	ds_read_b64 v[122:123], v12 offset:6272                    // 000000007090: D8EC1880 7A00000C
	ds_read_b64 v[124:125], v12 offset:7168                    // 000000007098: D8EC1C00 7C00000C
	ds_read_b64 v[126:127], v12 offset:7296                    // 0000000070A0: D8EC1C80 7E00000C
	ds_read_b64 v[128:129], v12 offset:8192                    // 0000000070A8: D8EC2000 8000000C
	ds_read_b64 v[130:131], v12 offset:8320                    // 0000000070B0: D8EC2080 8200000C
	ds_read_b64 v[132:133], v12 offset:9216                    // 0000000070B8: D8EC2400 8400000C
	ds_read_b64 v[134:135], v12 offset:9344                    // 0000000070C0: D8EC2480 8600000C
	ds_read_b64 v[136:137], v12 offset:10240                   // 0000000070C8: D8EC2800 8800000C
	ds_read_b64 v[138:139], v12 offset:10368                   // 0000000070D0: D8EC2880 8A00000C
	ds_read_b64 v[140:141], v12 offset:11264                   // 0000000070D8: D8EC2C00 8C00000C
	ds_read_b64 v[142:143], v12 offset:11392                   // 0000000070E0: D8EC2C80 8E00000C
	buffer_load_dwordx4 a[152:155], v198, s[20:23], 0 offen    // 0000000070E8: E05C1000 808598C6
	buffer_load_dwordx4 a[156:159], v199, s[20:23], 0 offen    // 0000000070F0: E05C1000 80859CC7
	s_waitcnt lgkmcnt(0)                                       // 0000000070F8: BF8CC07F
	v_mul_f32_e32 v176, v51, v176                              // 0000000070FC: 0B616133
	v_mul_f32_e32 v177, v51, v177                              // 000000007100: 0B636333
	v_mul_f32_e32 v178, v51, v178                              // 000000007104: 0B656533
	v_mul_f32_e32 v179, v51, v179                              // 000000007108: 0B676733
	v_mul_f32_e32 v180, v51, v180                              // 00000000710C: 0B696933
	v_mul_f32_e32 v181, v51, v181                              // 000000007110: 0B6B6B33
	v_mul_f32_e32 v182, v51, v182                              // 000000007114: 0B6D6D33
	v_mul_f32_e32 v183, v51, v183                              // 000000007118: 0B6F6F33
	s_waitcnt vmcnt(24)                                        // 00000000711C: BF8C4F78
	v_mfma_f32_16x16x16_f16 v[176:179], a[192:193], v[112:113], v[176:179]// 000000007120: D3CD00B0 0EC2E1C0
	v_mfma_f32_16x16x16_f16 v[176:179], a[194:195], v[114:115], v[176:179]// 000000007128: D3CD00B0 0EC2E5C2
	buffer_load_dwordx4 a[160:163], v192, s[20:23], 0 offen offset:1024// 000000007130: E05C1400 8085A0C0
	v_mfma_f32_16x16x16_f16 v[176:179], a[196:197], v[116:117], v[176:179]// 000000007138: D3CD00B0 0EC2E9C4
	v_mfma_f32_16x16x16_f16 v[176:179], a[198:199], v[118:119], v[176:179]// 000000007140: D3CD00B0 0EC2EDC6
	v_mfma_f32_16x16x16_f16 v[176:179], a[200:201], v[120:121], v[176:179]// 000000007148: D3CD00B0 0EC2F1C8
	v_mfma_f32_16x16x16_f16 v[176:179], a[202:203], v[122:123], v[176:179]// 000000007150: D3CD00B0 0EC2F5CA
	buffer_load_dwordx4 a[164:167], v193, s[20:23], 0 offen offset:1024// 000000007158: E05C1400 8085A4C1
	v_mfma_f32_16x16x16_f16 v[176:179], a[204:205], v[124:125], v[176:179]// 000000007160: D3CD00B0 0EC2F9CC
	v_mfma_f32_16x16x16_f16 v[176:179], a[206:207], v[126:127], v[176:179]// 000000007168: D3CD00B0 0EC2FDCE
	v_mfma_f32_16x16x16_f16 v[176:179], a[208:209], v[128:129], v[176:179]// 000000007170: D3CD00B0 0EC301D0
	v_mfma_f32_16x16x16_f16 v[176:179], a[210:211], v[130:131], v[176:179]// 000000007178: D3CD00B0 0EC305D2
	buffer_load_dwordx4 a[168:171], v194, s[20:23], 0 offen offset:1024// 000000007180: E05C1400 8085A8C2
	v_mfma_f32_16x16x16_f16 v[176:179], a[212:213], v[132:133], v[176:179]// 000000007188: D3CD00B0 0EC309D4
	v_mfma_f32_16x16x16_f16 v[176:179], a[214:215], v[134:135], v[176:179]// 000000007190: D3CD00B0 0EC30DD6
	v_mfma_f32_16x16x16_f16 v[176:179], a[216:217], v[136:137], v[176:179]// 000000007198: D3CD00B0 0EC311D8
	v_mfma_f32_16x16x16_f16 v[176:179], a[218:219], v[138:139], v[176:179]// 0000000071A0: D3CD00B0 0EC315DA
	buffer_load_dwordx4 a[172:175], v195, s[20:23], 0 offen offset:1024// 0000000071A8: E05C1400 8085ACC3
	v_mfma_f32_16x16x16_f16 v[176:179], a[220:221], v[140:141], v[176:179]// 0000000071B0: D3CD00B0 0EC319DC
	v_mfma_f32_16x16x16_f16 v[176:179], a[222:223], v[142:143], v[176:179]// 0000000071B8: D3CD00B0 0EC31DDE
	v_mfma_f32_16x16x16_f16 v[180:183], a[224:225], v[112:113], v[180:183]// 0000000071C0: D3CD00B4 0ED2E1E0
	v_mfma_f32_16x16x16_f16 v[180:183], a[226:227], v[114:115], v[180:183]// 0000000071C8: D3CD00B4 0ED2E5E2
	buffer_load_dwordx4 a[176:179], v196, s[20:23], 0 offen offset:1024// 0000000071D0: E05C1400 8085B0C4
	v_mfma_f32_16x16x16_f16 v[180:183], a[228:229], v[116:117], v[180:183]// 0000000071D8: D3CD00B4 0ED2E9E4
	v_mfma_f32_16x16x16_f16 v[180:183], a[230:231], v[118:119], v[180:183]// 0000000071E0: D3CD00B4 0ED2EDE6
	v_mfma_f32_16x16x16_f16 v[180:183], a[232:233], v[120:121], v[180:183]// 0000000071E8: D3CD00B4 0ED2F1E8
	v_mfma_f32_16x16x16_f16 v[180:183], a[234:235], v[122:123], v[180:183]// 0000000071F0: D3CD00B4 0ED2F5EA
	buffer_load_dwordx4 a[180:183], v197, s[20:23], 0 offen offset:1024// 0000000071F8: E05C1400 8085B4C5
	v_mfma_f32_16x16x16_f16 v[180:183], a[236:237], v[124:125], v[180:183]// 000000007200: D3CD00B4 0ED2F9EC
	v_mfma_f32_16x16x16_f16 v[180:183], a[238:239], v[126:127], v[180:183]// 000000007208: D3CD00B4 0ED2FDEE
	v_mfma_f32_16x16x16_f16 v[180:183], a[240:241], v[128:129], v[180:183]// 000000007210: D3CD00B4 0ED301F0
	v_mfma_f32_16x16x16_f16 v[180:183], a[242:243], v[130:131], v[180:183]// 000000007218: D3CD00B4 0ED305F2
	buffer_load_dwordx4 a[184:187], v198, s[20:23], 0 offen offset:1024// 000000007220: E05C1400 8085B8C6
	v_mfma_f32_16x16x16_f16 v[180:183], a[244:245], v[132:133], v[180:183]// 000000007228: D3CD00B4 0ED309F4
	v_mfma_f32_16x16x16_f16 v[180:183], a[246:247], v[134:135], v[180:183]// 000000007230: D3CD00B4 0ED30DF6
	v_mfma_f32_16x16x16_f16 v[180:183], a[248:249], v[136:137], v[180:183]// 000000007238: D3CD00B4 0ED311F8
	v_mfma_f32_16x16x16_f16 v[180:183], a[250:251], v[138:139], v[180:183]// 000000007240: D3CD00B4 0ED315FA
	buffer_load_dwordx4 a[188:191], v199, s[20:23], 0 offen offset:1024// 000000007248: E05C1400 8085BCC7
	v_mfma_f32_16x16x16_f16 v[180:183], a[252:253], v[140:141], v[180:183]// 000000007250: D3CD00B4 0ED319FC
	v_mfma_f32_16x16x16_f16 v[180:183], a[254:255], v[142:143], v[180:183]// 000000007258: D3CD00B4 0ED31DFE
	s_lshr_b32 s60, s70, 4                                     // 000000007260: 8F3C8446
	s_add_u32 s60, 48, s60                                     // 000000007264: 803C3CB0
	s_cmp_ge_u32 s60, s73                                      // 000000007268: BF09493C
	s_cselect_b32 s56, 0, s56                                  // 00000000726C: 85383880
	v_mul_u32_u24_dpp v39, v18, v54 row_newbcast:0 row_mask:0xf bank_mask:0xf// 000000007270: 104E6CFA FF015012
	v_mul_u32_u24_dpp v40, v18, v54 row_newbcast:4 row_mask:0xf bank_mask:0xf// 000000007278: 10506CFA FF015412
	v_mul_u32_u24_dpp v41, v18, v54 row_newbcast:8 row_mask:0xf bank_mask:0xf// 000000007280: 10526CFA FF015812
	v_mul_u32_u24_dpp v42, v18, v54 row_newbcast:12 row_mask:0xf bank_mask:0xf// 000000007288: 10546CFA FF015C12
	v_add_u32_e32 v27, v39, v6                                 // 000000007290: 68360D27
	v_add_u32_e32 v28, v40, v6                                 // 000000007294: 68380D28
	v_add_u32_e32 v29, v41, v6                                 // 000000007298: 683A0D29
	v_add_u32_e32 v30, v42, v6                                 // 00000000729C: 683C0D2A
	v_mul_u32_u24_dpp v39, v18, v54 row_newbcast:1 row_mask:0xf bank_mask:0xf// 0000000072A0: 104E6CFA FF015112
	v_mul_u32_u24_dpp v40, v18, v54 row_newbcast:2 row_mask:0xf bank_mask:0xf// 0000000072A8: 10506CFA FF015212
	v_mul_u32_u24_dpp v41, v18, v54 row_newbcast:5 row_mask:0xf bank_mask:0xf// 0000000072B0: 10526CFA FF015512
	v_mul_u32_u24_dpp v42, v18, v54 row_newbcast:6 row_mask:0xf bank_mask:0xf// 0000000072B8: 10546CFA FF015612
	v_add_u32_e32 v200, v39, v7                                // 0000000072C0: 69900F27
	v_add_u32_e32 v201, v40, v7                                // 0000000072C4: 69920F28
	v_add_u32_e32 v202, v41, v7                                // 0000000072C8: 69940F29
	v_add_u32_e32 v203, v42, v7                                // 0000000072CC: 69960F2A
	v_mul_u32_u24_dpp v39, v18, v54 row_newbcast:9 row_mask:0xf bank_mask:0xf// 0000000072D0: 104E6CFA FF015912
	v_mul_u32_u24_dpp v40, v18, v54 row_newbcast:10 row_mask:0xf bank_mask:0xf// 0000000072D8: 10506CFA FF015A12
	v_mul_u32_u24_dpp v41, v18, v54 row_newbcast:13 row_mask:0xf bank_mask:0xf// 0000000072E0: 10526CFA FF015D12
	v_mul_u32_u24_dpp v42, v18, v54 row_newbcast:7 row_mask:0xf bank_mask:0xf// 0000000072E8: 10546CFA FF015712
	v_add_u32_e32 v204, v39, v7                                // 0000000072F0: 69980F27
	v_add_u32_e32 v205, v40, v7                                // 0000000072F4: 699A0F28
	v_add_u32_e32 v206, v41, v7                                // 0000000072F8: 699C0F29
	v_add_u32_e32 v207, v42, v7                                // 0000000072FC: 699E0F2A
	v_add_u32_e32 v1, s56, v1                                  // 000000007300: 68020238
	s_addk_i32 s70, 0x100                                      // 000000007304: B7460100
	s_cmp_lt_i32 s70, s71                                      // 000000007308: BF044746
	s_cbranch_scc0 label_1446                                  // 00000000730C: BF840001
	s_branch label_0FB9                                        // 000000007310: BF82FB73

0000000000007314 <label_1446>:
	s_nop 0                                                    // 000000007314: BF800000
	s_nop 0                                                    // 000000007318: BF800000
	s_branch label_18D6                                        // 00000000731C: BF82048D

0000000000007320 <label_1449>:
	s_waitcnt vmcnt(16) lgkmcnt(0)                             // 000000007320: BF8C4070
	v_mfma_f32_16x16x16_f16 v[112:115], a[0:1], v[80:81], 0    // 000000007324: D3CD0070 0A02A100
	buffer_load_dwordx4 a[64:67], v27, s[16:19], 0 offen       // 00000000732C: E05C1000 8084401B
	v_mfma_f32_16x16x16_f16 v[112:115], a[2:3], v[82:83], v[112:115]// 000000007334: D3CD0070 0DC2A502
	v_mfma_f32_16x16x16_f16 v[112:115], a[4:5], v[84:85], v[112:115]// 00000000733C: D3CD0070 0DC2A904
	buffer_load_dword v17, v1, s[24:27], 0 offen               // 000000007344: E0501000 80061101
	v_mfma_f32_16x16x16_f16 v[112:115], a[6:7], v[86:87], v[112:115]// 00000000734C: D3CD0070 0DC2AD06
	v_mfma_f32_16x16x16_f16 v[112:115], a[8:9], v[88:89], v[112:115]// 000000007354: D3CD0070 0DC2B108
	buffer_load_dwordx4 a[68:71], v27, s[16:19], 0 offen offset:1024// 00000000735C: E05C1400 8084441B
	v_mfma_f32_16x16x16_f16 v[112:115], a[10:11], v[90:91], v[112:115]// 000000007364: D3CD0070 0DC2B50A
	v_mfma_f32_16x16x16_f16 v[112:115], a[12:13], v[92:93], v[112:115]// 00000000736C: D3CD0070 0DC2B90C
	v_mfma_f32_16x16x16_f16 v[112:115], a[14:15], v[94:95], v[112:115]// 000000007374: D3CD0070 0DC2BD0E
	v_mfma_f32_16x16x16_f16 v[116:119], a[16:17], v[80:81], 0  // 00000000737C: D3CD0074 0A02A110
	buffer_load_dwordx4 a[72:75], v27, s[16:19], 0 offen offset:2048// 000000007384: E05C1800 8084481B
	v_mfma_f32_16x16x16_f16 v[116:119], a[18:19], v[82:83], v[116:119]// 00000000738C: D3CD0074 0DD2A512
	v_mfma_f32_16x16x16_f16 v[116:119], a[20:21], v[84:85], v[116:119]// 000000007394: D3CD0074 0DD2A914
	v_mfma_f32_16x16x16_f16 v[116:119], a[22:23], v[86:87], v[116:119]// 00000000739C: D3CD0074 0DD2AD16
	v_mfma_f32_16x16x16_f16 v[116:119], a[24:25], v[88:89], v[116:119]// 0000000073A4: D3CD0074 0DD2B118
	buffer_load_dwordx4 a[76:79], v27, s[16:19], 0 offen offset:3072// 0000000073AC: E05C1C00 80844C1B
	v_mfma_f32_16x16x16_f16 v[116:119], a[26:27], v[90:91], v[116:119]// 0000000073B4: D3CD0074 0DD2B51A
	v_mfma_f32_16x16x16_f16 v[116:119], a[28:29], v[92:93], v[116:119]// 0000000073BC: D3CD0074 0DD2B91C
	v_mfma_f32_16x16x16_f16 v[116:119], a[30:31], v[94:95], v[116:119]// 0000000073C4: D3CD0074 0DD2BD1E
	v_mfma_f32_16x16x16_f16 v[120:123], a[32:33], v[80:81], 0  // 0000000073CC: D3CD0078 0A02A120
	buffer_load_dwordx4 a[80:83], v28, s[16:19], 0 offen       // 0000000073D4: E05C1000 8084501C
	v_mfma_f32_16x16x16_f16 v[120:123], a[34:35], v[82:83], v[120:123]// 0000000073DC: D3CD0078 0DE2A522
	v_mfma_f32_16x16x16_f16 v[120:123], a[36:37], v[84:85], v[120:123]// 0000000073E4: D3CD0078 0DE2A924
	v_mfma_f32_16x16x16_f16 v[120:123], a[38:39], v[86:87], v[120:123]// 0000000073EC: D3CD0078 0DE2AD26
	v_mfma_f32_16x16x16_f16 v[120:123], a[40:41], v[88:89], v[120:123]// 0000000073F4: D3CD0078 0DE2B128
	buffer_load_dwordx4 a[84:87], v28, s[16:19], 0 offen offset:1024// 0000000073FC: E05C1400 8084541C
	v_mfma_f32_16x16x16_f16 v[120:123], a[42:43], v[90:91], v[120:123]// 000000007404: D3CD0078 0DE2B52A
	v_mfma_f32_16x16x16_f16 v[120:123], a[44:45], v[92:93], v[120:123]// 00000000740C: D3CD0078 0DE2B92C
	v_mfma_f32_16x16x16_f16 v[120:123], a[46:47], v[94:95], v[120:123]// 000000007414: D3CD0078 0DE2BD2E
	v_mfma_f32_16x16x16_f16 v[124:127], a[48:49], v[80:81], 0  // 00000000741C: D3CD007C 0A02A130
	buffer_load_dwordx4 a[88:91], v28, s[16:19], 0 offen offset:2048// 000000007424: E05C1800 8084581C
	v_mfma_f32_16x16x16_f16 v[124:127], a[50:51], v[82:83], v[124:127]// 00000000742C: D3CD007C 0DF2A532
	v_mfma_f32_16x16x16_f16 v[124:127], a[52:53], v[84:85], v[124:127]// 000000007434: D3CD007C 0DF2A934
	v_mfma_f32_16x16x16_f16 v[124:127], a[54:55], v[86:87], v[124:127]// 00000000743C: D3CD007C 0DF2AD36
	v_mfma_f32_16x16x16_f16 v[124:127], a[56:57], v[88:89], v[124:127]// 000000007444: D3CD007C 0DF2B138
	buffer_load_dwordx4 a[92:95], v28, s[16:19], 0 offen offset:3072// 00000000744C: E05C1C00 80845C1C
	v_mfma_f32_16x16x16_f16 v[124:127], a[58:59], v[90:91], v[124:127]// 000000007454: D3CD007C 0DF2B53A
	v_mfma_f32_16x16x16_f16 v[124:127], a[60:61], v[92:93], v[124:127]// 00000000745C: D3CD007C 0DF2B93C
	v_mfma_f32_16x16x16_f16 v[124:127], a[62:63], v[94:95], v[124:127]// 000000007464: D3CD007C 0DF2BD3E
	s_cmp_le_i32 s90, s89                                      // 00000000746C: BF05595A
	s_cbranch_scc1 label_1511                                  // 000000007470: BF850073
	v_mov_b32_e32 v55, 0xff800000                              // 000000007474: 7E6E02FF FF800000
	s_mov_b32 s60, s90                                         // 00000000747C: BEBC005A
	s_add_u32 s61, s89, 0xff                                   // 000000007480: 803DFF59 000000FF
	v_mov_b32_e32 v39, s61                                     // 000000007488: 7E4E023D
	v_lshrrev_b32_e32 v31, 4, v0                               // 00000000748C: 203E0084
	v_mul_i32_i24_e32 v31, 4, v31                              // 000000007490: 0C3E3E84
	v_add_u32_e32 v31, s60, v31                                // 000000007494: 683E3E3C
	v_and_b32_e32 v40, 15, v0                                  // 000000007498: 2650008F
	v_lshrrev_b32_e32 v40, 3, v40                              // 00000000749C: 20505083
	s_mov_b32 s61, 0                                           // 0000000074A0: BEBD0080
	s_mul_i32 s60, 16, s7                                      // 0000000074A4: 923C0790
	v_add_u32_e32 v40, s61, v40                                // 0000000074A8: 6850503D
	v_sub_u32_e32 v31, v31, v40                                // 0000000074AC: 6A3E511F
	v_add_u32_e32 v31, s60, v31                                // 0000000074B0: 683E3E3C
	v_add_u32_e32 v32, 1, v31                                  // 0000000074B4: 68403E81
	v_add_u32_e32 v33, 2, v31                                  // 0000000074B8: 68423E82
	v_add_u32_e32 v34, 3, v31                                  // 0000000074BC: 68443E83
	v_cmp_le_u32_e64 s[40:41], v31, v39                        // 0000000074C0: D0CB0028 00024F1F
	v_add_u32_e32 v31, 64, v31                                 // 0000000074C8: 683E3EC0
	s_nop 0                                                    // 0000000074CC: BF800000
	v_cndmask_b32_e64 v112, v55, v112, s[40:41]                // 0000000074D0: D1000070 00A2E137
	v_cmp_le_u32_e64 s[40:41], v32, v39                        // 0000000074D8: D0CB0028 00024F20
	v_add_u32_e32 v32, 64, v32                                 // 0000000074E0: 684040C0
	s_nop 0                                                    // 0000000074E4: BF800000
	v_cndmask_b32_e64 v113, v55, v113, s[40:41]                // 0000000074E8: D1000071 00A2E337
	v_cmp_le_u32_e64 s[40:41], v33, v39                        // 0000000074F0: D0CB0028 00024F21
	v_add_u32_e32 v33, 64, v33                                 // 0000000074F8: 684242C0
	s_nop 0                                                    // 0000000074FC: BF800000
	v_cndmask_b32_e64 v114, v55, v114, s[40:41]                // 000000007500: D1000072 00A2E537
	v_cmp_le_u32_e64 s[40:41], v34, v39                        // 000000007508: D0CB0028 00024F22
	v_add_u32_e32 v34, 64, v34                                 // 000000007510: 684444C0
	s_nop 0                                                    // 000000007514: BF800000
	v_cndmask_b32_e64 v115, v55, v115, s[40:41]                // 000000007518: D1000073 00A2E737
	v_cmp_le_u32_e64 s[40:41], v31, v39                        // 000000007520: D0CB0028 00024F1F
	v_add_u32_e32 v31, 64, v31                                 // 000000007528: 683E3EC0
	s_nop 0                                                    // 00000000752C: BF800000
	v_cndmask_b32_e64 v116, v55, v116, s[40:41]                // 000000007530: D1000074 00A2E937
	v_cmp_le_u32_e64 s[40:41], v32, v39                        // 000000007538: D0CB0028 00024F20
	v_add_u32_e32 v32, 64, v32                                 // 000000007540: 684040C0
	s_nop 0                                                    // 000000007544: BF800000
	v_cndmask_b32_e64 v117, v55, v117, s[40:41]                // 000000007548: D1000075 00A2EB37
	v_cmp_le_u32_e64 s[40:41], v33, v39                        // 000000007550: D0CB0028 00024F21
	v_add_u32_e32 v33, 64, v33                                 // 000000007558: 684242C0
	s_nop 0                                                    // 00000000755C: BF800000
	v_cndmask_b32_e64 v118, v55, v118, s[40:41]                // 000000007560: D1000076 00A2ED37
	v_cmp_le_u32_e64 s[40:41], v34, v39                        // 000000007568: D0CB0028 00024F22
	v_add_u32_e32 v34, 64, v34                                 // 000000007570: 684444C0
	s_nop 0                                                    // 000000007574: BF800000
	v_cndmask_b32_e64 v119, v55, v119, s[40:41]                // 000000007578: D1000077 00A2EF37
	v_cmp_le_u32_e64 s[40:41], v31, v39                        // 000000007580: D0CB0028 00024F1F
	v_add_u32_e32 v31, 64, v31                                 // 000000007588: 683E3EC0
	s_nop 0                                                    // 00000000758C: BF800000
	v_cndmask_b32_e64 v120, v55, v120, s[40:41]                // 000000007590: D1000078 00A2F137
	v_cmp_le_u32_e64 s[40:41], v32, v39                        // 000000007598: D0CB0028 00024F20
	v_add_u32_e32 v32, 64, v32                                 // 0000000075A0: 684040C0
	s_nop 0                                                    // 0000000075A4: BF800000
	v_cndmask_b32_e64 v121, v55, v121, s[40:41]                // 0000000075A8: D1000079 00A2F337
	v_cmp_le_u32_e64 s[40:41], v33, v39                        // 0000000075B0: D0CB0028 00024F21
	v_add_u32_e32 v33, 64, v33                                 // 0000000075B8: 684242C0
	s_nop 0                                                    // 0000000075BC: BF800000
	v_cndmask_b32_e64 v122, v55, v122, s[40:41]                // 0000000075C0: D100007A 00A2F537
	v_cmp_le_u32_e64 s[40:41], v34, v39                        // 0000000075C8: D0CB0028 00024F22
	v_add_u32_e32 v34, 64, v34                                 // 0000000075D0: 684444C0
	s_nop 0                                                    // 0000000075D4: BF800000
	v_cndmask_b32_e64 v123, v55, v123, s[40:41]                // 0000000075D8: D100007B 00A2F737
	v_cmp_le_u32_e64 s[40:41], v31, v39                        // 0000000075E0: D0CB0028 00024F1F
	v_add_u32_e32 v31, 64, v31                                 // 0000000075E8: 683E3EC0
	s_nop 0                                                    // 0000000075EC: BF800000
	v_cndmask_b32_e64 v124, v55, v124, s[40:41]                // 0000000075F0: D100007C 00A2F937
	v_cmp_le_u32_e64 s[40:41], v32, v39                        // 0000000075F8: D0CB0028 00024F20
	v_add_u32_e32 v32, 64, v32                                 // 000000007600: 684040C0
	s_nop 0                                                    // 000000007604: BF800000
	v_cndmask_b32_e64 v125, v55, v125, s[40:41]                // 000000007608: D100007D 00A2FB37
	v_cmp_le_u32_e64 s[40:41], v33, v39                        // 000000007610: D0CB0028 00024F21
	v_add_u32_e32 v33, 64, v33                                 // 000000007618: 684242C0
	s_nop 0                                                    // 00000000761C: BF800000
	v_cndmask_b32_e64 v126, v55, v126, s[40:41]                // 000000007620: D100007E 00A2FD37
	v_cmp_le_u32_e64 s[40:41], v34, v39                        // 000000007628: D0CB0028 00024F22
	v_add_u32_e32 v34, 64, v34                                 // 000000007630: 684444C0
	s_nop 0                                                    // 000000007634: BF800000
	v_cndmask_b32_e64 v127, v55, v127, s[40:41]                // 000000007638: D100007F 00A2FF37

0000000000007640 <label_1511>:
	s_add_u32 s90, s91, s90                                    // 000000007640: 805A5A5B
	s_nop 0                                                    // 000000007644: BF800000
	buffer_load_dwordx4 a[96:99], v29, s[16:19], 0 offen       // 000000007648: E05C1000 8084601D
	s_nop 8                                                    // 000000007650: BF800008
	buffer_load_dwordx4 a[100:103], v29, s[16:19], 0 offen offset:1024// 000000007654: E05C1400 8084641D
	v_mov_b32_e32 v50, v112                                    // 00000000765C: 7E640370
	v_max3_f32 v50, v112, v113, v50                            // 000000007660: D1D30032 04CAE370
	v_max3_f32 v50, v114, v115, v50                            // 000000007668: D1D30032 04CAE772
	v_max3_f32 v50, v116, v117, v50                            // 000000007670: D1D30032 04CAEB74
	v_max3_f32 v50, v118, v119, v50                            // 000000007678: D1D30032 04CAEF76
	v_max3_f32 v50, v120, v121, v50                            // 000000007680: D1D30032 04CAF378
	v_max3_f32 v50, v122, v123, v50                            // 000000007688: D1D30032 04CAF77A
	v_max3_f32 v50, v124, v125, v50                            // 000000007690: D1D30032 04CAFB7C
	v_max3_f32 v50, v126, v127, v50                            // 000000007698: D1D30032 04CAFF7E
	ds_write_b32 v11, v50                                      // 0000000076A0: D81A0000 0000320B
	buffer_load_dwordx4 a[104:107], v29, s[16:19], 0 offen offset:2048// 0000000076A8: E05C1800 8084681D
	s_waitcnt lgkmcnt(0)                                       // 0000000076B0: BF8CC07F
	s_barrier                                                  // 0000000076B4: BF8A0000
	ds_read_b32 v64, v10                                       // 0000000076B8: D86C0000 4000000A
	buffer_load_dwordx4 a[108:111], v29, s[16:19], 0 offen offset:3072// 0000000076C0: E05C1C00 80846C1D
	ds_read_b32 v65, v10 offset:64                             // 0000000076C8: D86C0040 4100000A
	ds_read_b32 v66, v10 offset:128                            // 0000000076D0: D86C0080 4200000A
	ds_read_b32 v67, v10 offset:192                            // 0000000076D8: D86C00C0 4300000A
	ds_read_b32 v68, v10 offset:256                            // 0000000076E0: D86C0100 4400000A
	ds_read_b32 v69, v10 offset:320                            // 0000000076E8: D86C0140 4500000A
	ds_read_b32 v70, v10 offset:384                            // 0000000076F0: D86C0180 4600000A
	ds_read_b32 v71, v10 offset:448                            // 0000000076F8: D86C01C0 4700000A
	ds_read_b32 v72, v10 offset:512                            // 000000007700: D86C0200 4800000A
	buffer_load_dwordx4 a[112:115], v30, s[16:19], 0 offen     // 000000007708: E05C1000 8084701E
	ds_read_b32 v73, v10 offset:576                            // 000000007710: D86C0240 4900000A
	ds_read_b32 v74, v10 offset:640                            // 000000007718: D86C0280 4A00000A
	ds_read_b32 v75, v10 offset:704                            // 000000007720: D86C02C0 4B00000A
	ds_read_b32 v76, v10 offset:768                            // 000000007728: D86C0300 4C00000A
	ds_read_b32 v77, v10 offset:832                            // 000000007730: D86C0340 4D00000A
	ds_read_b32 v78, v10 offset:896                            // 000000007738: D86C0380 4E00000A
	ds_read_b32 v79, v10 offset:960                            // 000000007740: D86C03C0 4F00000A
	buffer_load_dwordx4 a[116:119], v30, s[16:19], 0 offen offset:1024// 000000007748: E05C1400 8084741E
	buffer_load_dwordx4 a[120:123], v30, s[16:19], 0 offen offset:2048// 000000007750: E05C1800 8084781E
	s_waitcnt lgkmcnt(0)                                       // 000000007758: BF8CC07F
	v_max3_f32 v50, v64, v65, v50                              // 00000000775C: D1D30032 04CA8340
	v_max3_f32 v50, v66, v67, v50                              // 000000007764: D1D30032 04CA8742
	v_max3_f32 v50, v68, v69, v50                              // 00000000776C: D1D30032 04CA8B44
	v_max3_f32 v50, v70, v71, v50                              // 000000007774: D1D30032 04CA8F46
	v_max3_f32 v50, v72, v73, v50                              // 00000000777C: D1D30032 04CA9348
	v_max3_f32 v50, v74, v75, v50                              // 000000007784: D1D30032 04CA974A
	v_max3_f32 v50, v76, v77, v50                              // 00000000778C: D1D30032 04CA9B4C
	v_max3_f32 v50, v78, v79, v50                              // 000000007794: D1D30032 04CA9F4E
	buffer_load_dwordx4 a[124:127], v30, s[16:19], 0 offen offset:3072// 00000000779C: E05C1C00 80847C1E
	v_cmp_eq_u32_e64 s[40:41], v55, v14                        // 0000000077A4: D0CA0028 00021D37
	s_nop 1                                                    // 0000000077AC: BF800001
	v_max_f32_e32 v16, v50, v14                                // 0000000077B0: 16201D32
	v_sub_f32_e32 v51, v14, v16                                // 0000000077B4: 0466210E
	v_cndmask_b32_e64 v51, v51, 0, s[40:41]                    // 0000000077B8: D1000033 00A10133
	v_mov_b32_e32 v14, v16                                     // 0000000077C0: 7E1C0310
	v_mul_f32_e32 v53, s64, v16                                // 0000000077C4: 0A6A2040
	v_mul_f32_e32 v51, s64, v51                                // 0000000077C8: 0A666640
	v_exp_f32_e32 v51, v51                                     // 0000000077CC: 7E664133
	buffer_load_dwordx4 a[192:195], v200, s[20:23], 0 offen    // 0000000077D0: E05C1000 8085C0C8
	v_fma_f32 v112, v112, s64, -v53                            // 0000000077D8: D1CB0070 84D48170
	v_fma_f32 v113, v113, s64, -v53                            // 0000000077E0: D1CB0071 84D48171
	v_fma_f32 v114, v114, s64, -v53                            // 0000000077E8: D1CB0072 84D48172
	v_fma_f32 v115, v115, s64, -v53                            // 0000000077F0: D1CB0073 84D48173
	v_fma_f32 v116, v116, s64, -v53                            // 0000000077F8: D1CB0074 84D48174
	v_fma_f32 v117, v117, s64, -v53                            // 000000007800: D1CB0075 84D48175
	v_fma_f32 v118, v118, s64, -v53                            // 000000007808: D1CB0076 84D48176
	v_fma_f32 v119, v119, s64, -v53                            // 000000007810: D1CB0077 84D48177
	v_fma_f32 v120, v120, s64, -v53                            // 000000007818: D1CB0078 84D48178
	v_fma_f32 v121, v121, s64, -v53                            // 000000007820: D1CB0079 84D48179
	v_fma_f32 v122, v122, s64, -v53                            // 000000007828: D1CB007A 84D4817A
	v_fma_f32 v123, v123, s64, -v53                            // 000000007830: D1CB007B 84D4817B
	v_fma_f32 v124, v124, s64, -v53                            // 000000007838: D1CB007C 84D4817C
	v_fma_f32 v125, v125, s64, -v53                            // 000000007840: D1CB007D 84D4817D
	v_fma_f32 v126, v126, s64, -v53                            // 000000007848: D1CB007E 84D4817E
	v_fma_f32 v127, v127, s64, -v53                            // 000000007850: D1CB007F 84D4817F
	v_exp_f32_e32 v112, v112                                   // 000000007858: 7EE04170
	v_exp_f32_e32 v113, v113                                   // 00000000785C: 7EE24171
	v_exp_f32_e32 v114, v114                                   // 000000007860: 7EE44172
	v_exp_f32_e32 v115, v115                                   // 000000007864: 7EE64173
	v_exp_f32_e32 v116, v116                                   // 000000007868: 7EE84174
	v_exp_f32_e32 v117, v117                                   // 00000000786C: 7EEA4175
	v_exp_f32_e32 v118, v118                                   // 000000007870: 7EEC4176
	v_exp_f32_e32 v119, v119                                   // 000000007874: 7EEE4177
	v_exp_f32_e32 v120, v120                                   // 000000007878: 7EF04178
	v_exp_f32_e32 v121, v121                                   // 00000000787C: 7EF24179
	v_exp_f32_e32 v122, v122                                   // 000000007880: 7EF4417A
	v_exp_f32_e32 v123, v123                                   // 000000007884: 7EF6417B
	v_exp_f32_e32 v124, v124                                   // 000000007888: 7EF8417C
	v_exp_f32_e32 v125, v125                                   // 00000000788C: 7EFA417D
	v_exp_f32_e32 v126, v126                                   // 000000007890: 7EFC417E
	v_exp_f32_e32 v127, v127                                   // 000000007894: 7EFE417F
	buffer_load_dwordx4 a[196:199], v201, s[20:23], 0 offen    // 000000007898: E05C1000 8085C4C9
	v_mul_f32_e32 v43, v51, v43                                // 0000000078A0: 0A565733
	v_mov_b32_e32 v45, v112                                    // 0000000078A4: 7E5A0370
	v_add_f32_e32 v45, v113, v45                               // 0000000078A8: 025A5B71
	v_add_f32_e32 v45, v114, v45                               // 0000000078AC: 025A5B72
	v_add_f32_e32 v45, v115, v45                               // 0000000078B0: 025A5B73
	v_add_f32_e32 v45, v116, v45                               // 0000000078B4: 025A5B74
	v_add_f32_e32 v45, v117, v45                               // 0000000078B8: 025A5B75
	v_add_f32_e32 v45, v118, v45                               // 0000000078BC: 025A5B76
	v_add_f32_e32 v45, v119, v45                               // 0000000078C0: 025A5B77
	v_add_f32_e32 v45, v120, v45                               // 0000000078C4: 025A5B78
	v_add_f32_e32 v45, v121, v45                               // 0000000078C8: 025A5B79
	v_add_f32_e32 v45, v122, v45                               // 0000000078CC: 025A5B7A
	v_add_f32_e32 v45, v123, v45                               // 0000000078D0: 025A5B7B
	v_add_f32_e32 v45, v124, v45                               // 0000000078D4: 025A5B7C
	v_add_f32_e32 v45, v125, v45                               // 0000000078D8: 025A5B7D
	v_add_f32_e32 v45, v126, v45                               // 0000000078DC: 025A5B7E
	v_add_f32_e32 v45, v127, v45                               // 0000000078E0: 025A5B7F
	v_add_f32_e32 v43, v45, v43                                // 0000000078E4: 0256572D
	buffer_load_dwordx4 a[200:203], v202, s[20:23], 0 offen    // 0000000078E8: E05C1000 8085C8CA
	v_cvt_pkrtz_f16_f32 v39, v112, v113                        // 0000000078F0: D2960027 0002E370
	v_mov_b32_e32 v112, v39                                    // 0000000078F8: 7EE00327
	v_cvt_pkrtz_f16_f32 v39, v114, v115                        // 0000000078FC: D2960027 0002E772
	v_mov_b32_e32 v113, v39                                    // 000000007904: 7EE20327
	v_cvt_pkrtz_f16_f32 v39, v116, v117                        // 000000007908: D2960027 0002EB74
	v_mov_b32_e32 v114, v39                                    // 000000007910: 7EE40327
	v_cvt_pkrtz_f16_f32 v39, v118, v119                        // 000000007914: D2960027 0002EF76
	v_mov_b32_e32 v115, v39                                    // 00000000791C: 7EE60327
	v_cvt_pkrtz_f16_f32 v39, v120, v121                        // 000000007920: D2960027 0002F378
	v_mov_b32_e32 v116, v39                                    // 000000007928: 7EE80327
	v_cvt_pkrtz_f16_f32 v39, v122, v123                        // 00000000792C: D2960027 0002F77A
	v_mov_b32_e32 v117, v39                                    // 000000007934: 7EEA0327
	v_cvt_pkrtz_f16_f32 v39, v124, v125                        // 000000007938: D2960027 0002FB7C
	v_mov_b32_e32 v118, v39                                    // 000000007940: 7EEC0327
	v_cvt_pkrtz_f16_f32 v39, v126, v127                        // 000000007944: D2960027 0002FF7E
	v_mov_b32_e32 v119, v39                                    // 00000000794C: 7EEE0327
	buffer_load_dwordx4 a[204:207], v203, s[20:23], 0 offen    // 000000007950: E05C1000 8085CCCB
	buffer_load_dwordx4 a[208:211], v204, s[20:23], 0 offen    // 000000007958: E05C1000 8085D0CC
	ds_write_b64 v13, v[112:113] offset:4096                   // 000000007960: D89A1000 0000700D
	ds_write_b64 v13, v[114:115] offset:6144                   // 000000007968: D89A1800 0000720D
	ds_write_b64 v13, v[116:117] offset:8192                   // 000000007970: D89A2000 0000740D
	ds_write_b64 v13, v[118:119] offset:10240                  // 000000007978: D89A2800 0000760D
	buffer_load_dwordx4 a[212:215], v205, s[20:23], 0 offen    // 000000007980: E05C1000 8085D4CD
	s_waitcnt lgkmcnt(0)                                       // 000000007988: BF8CC07F
	s_barrier                                                  // 00000000798C: BF8A0000
	ds_read_b64 v[112:113], v12 offset:4096                    // 000000007990: D8EC1000 7000000C
	ds_read_b64 v[114:115], v12 offset:4224                    // 000000007998: D8EC1080 7200000C
	ds_read_b64 v[116:117], v12 offset:5120                    // 0000000079A0: D8EC1400 7400000C
	ds_read_b64 v[118:119], v12 offset:5248                    // 0000000079A8: D8EC1480 7600000C
	ds_read_b64 v[120:121], v12 offset:6144                    // 0000000079B0: D8EC1800 7800000C
	ds_read_b64 v[122:123], v12 offset:6272                    // 0000000079B8: D8EC1880 7A00000C
	ds_read_b64 v[124:125], v12 offset:7168                    // 0000000079C0: D8EC1C00 7C00000C
	ds_read_b64 v[126:127], v12 offset:7296                    // 0000000079C8: D8EC1C80 7E00000C
	ds_read_b64 v[128:129], v12 offset:8192                    // 0000000079D0: D8EC2000 8000000C
	ds_read_b64 v[130:131], v12 offset:8320                    // 0000000079D8: D8EC2080 8200000C
	ds_read_b64 v[132:133], v12 offset:9216                    // 0000000079E0: D8EC2400 8400000C
	ds_read_b64 v[134:135], v12 offset:9344                    // 0000000079E8: D8EC2480 8600000C
	ds_read_b64 v[136:137], v12 offset:10240                   // 0000000079F0: D8EC2800 8800000C
	ds_read_b64 v[138:139], v12 offset:10368                   // 0000000079F8: D8EC2880 8A00000C
	ds_read_b64 v[140:141], v12 offset:11264                   // 000000007A00: D8EC2C00 8C00000C
	ds_read_b64 v[142:143], v12 offset:11392                   // 000000007A08: D8EC2C80 8E00000C
	buffer_load_dwordx4 a[216:219], v206, s[20:23], 0 offen    // 000000007A10: E05C1000 8085D8CE
	buffer_load_dwordx4 a[220:223], v207, s[20:23], 0 offen    // 000000007A18: E05C1000 8085DCCF
	s_waitcnt lgkmcnt(0)                                       // 000000007A20: BF8CC07F
	v_mul_f32_e32 v176, v51, v176                              // 000000007A24: 0B616133
	v_mul_f32_e32 v177, v51, v177                              // 000000007A28: 0B636333
	v_mul_f32_e32 v178, v51, v178                              // 000000007A2C: 0B656533
	v_mul_f32_e32 v179, v51, v179                              // 000000007A30: 0B676733
	v_mul_f32_e32 v180, v51, v180                              // 000000007A34: 0B696933
	v_mul_f32_e32 v181, v51, v181                              // 000000007A38: 0B6B6B33
	v_mul_f32_e32 v182, v51, v182                              // 000000007A3C: 0B6D6D33
	v_mul_f32_e32 v183, v51, v183                              // 000000007A40: 0B6F6F33
	s_waitcnt vmcnt(24)                                        // 000000007A44: BF8C4F78
	v_mfma_f32_16x16x16_f16 v[176:179], a[128:129], v[112:113], v[176:179]// 000000007A48: D3CD00B0 0EC2E180
	buffer_load_dwordx4 a[224:227], v200, s[20:23], 0 offen offset:1024// 000000007A50: E05C1400 8085E0C8
	v_mfma_f32_16x16x16_f16 v[176:179], a[130:131], v[114:115], v[176:179]// 000000007A58: D3CD00B0 0EC2E582
	v_mfma_f32_16x16x16_f16 v[176:179], a[132:133], v[116:117], v[176:179]// 000000007A60: D3CD00B0 0EC2E984
	v_mfma_f32_16x16x16_f16 v[176:179], a[134:135], v[118:119], v[176:179]// 000000007A68: D3CD00B0 0EC2ED86
	v_mfma_f32_16x16x16_f16 v[176:179], a[136:137], v[120:121], v[176:179]// 000000007A70: D3CD00B0 0EC2F188
	buffer_load_dwordx4 a[228:231], v201, s[20:23], 0 offen offset:1024// 000000007A78: E05C1400 8085E4C9
	v_mfma_f32_16x16x16_f16 v[176:179], a[138:139], v[122:123], v[176:179]// 000000007A80: D3CD00B0 0EC2F58A
	v_mfma_f32_16x16x16_f16 v[176:179], a[140:141], v[124:125], v[176:179]// 000000007A88: D3CD00B0 0EC2F98C
	v_mfma_f32_16x16x16_f16 v[176:179], a[142:143], v[126:127], v[176:179]// 000000007A90: D3CD00B0 0EC2FD8E
	v_mfma_f32_16x16x16_f16 v[176:179], a[144:145], v[128:129], v[176:179]// 000000007A98: D3CD00B0 0EC30190
	buffer_load_dwordx4 a[232:235], v202, s[20:23], 0 offen offset:1024// 000000007AA0: E05C1400 8085E8CA
	v_mfma_f32_16x16x16_f16 v[176:179], a[146:147], v[130:131], v[176:179]// 000000007AA8: D3CD00B0 0EC30592
	v_mfma_f32_16x16x16_f16 v[176:179], a[148:149], v[132:133], v[176:179]// 000000007AB0: D3CD00B0 0EC30994
	v_mfma_f32_16x16x16_f16 v[176:179], a[150:151], v[134:135], v[176:179]// 000000007AB8: D3CD00B0 0EC30D96
	v_mfma_f32_16x16x16_f16 v[176:179], a[152:153], v[136:137], v[176:179]// 000000007AC0: D3CD00B0 0EC31198
	buffer_load_dwordx4 a[236:239], v203, s[20:23], 0 offen offset:1024// 000000007AC8: E05C1400 8085ECCB
	v_mfma_f32_16x16x16_f16 v[176:179], a[154:155], v[138:139], v[176:179]// 000000007AD0: D3CD00B0 0EC3159A
	v_mfma_f32_16x16x16_f16 v[176:179], a[156:157], v[140:141], v[176:179]// 000000007AD8: D3CD00B0 0EC3199C
	v_mfma_f32_16x16x16_f16 v[176:179], a[158:159], v[142:143], v[176:179]// 000000007AE0: D3CD00B0 0EC31D9E
	v_mfma_f32_16x16x16_f16 v[180:183], a[160:161], v[112:113], v[180:183]// 000000007AE8: D3CD00B4 0ED2E1A0
	buffer_load_dwordx4 a[240:243], v204, s[20:23], 0 offen offset:1024// 000000007AF0: E05C1400 8085F0CC
	v_mfma_f32_16x16x16_f16 v[180:183], a[162:163], v[114:115], v[180:183]// 000000007AF8: D3CD00B4 0ED2E5A2
	v_mfma_f32_16x16x16_f16 v[180:183], a[164:165], v[116:117], v[180:183]// 000000007B00: D3CD00B4 0ED2E9A4
	v_mfma_f32_16x16x16_f16 v[180:183], a[166:167], v[118:119], v[180:183]// 000000007B08: D3CD00B4 0ED2EDA6
	v_mfma_f32_16x16x16_f16 v[180:183], a[168:169], v[120:121], v[180:183]// 000000007B10: D3CD00B4 0ED2F1A8
	buffer_load_dwordx4 a[244:247], v205, s[20:23], 0 offen offset:1024// 000000007B18: E05C1400 8085F4CD
	v_mfma_f32_16x16x16_f16 v[180:183], a[170:171], v[122:123], v[180:183]// 000000007B20: D3CD00B4 0ED2F5AA
	v_mfma_f32_16x16x16_f16 v[180:183], a[172:173], v[124:125], v[180:183]// 000000007B28: D3CD00B4 0ED2F9AC
	v_mfma_f32_16x16x16_f16 v[180:183], a[174:175], v[126:127], v[180:183]// 000000007B30: D3CD00B4 0ED2FDAE
	v_mfma_f32_16x16x16_f16 v[180:183], a[176:177], v[128:129], v[180:183]// 000000007B38: D3CD00B4 0ED301B0
	buffer_load_dwordx4 a[248:251], v206, s[20:23], 0 offen offset:1024// 000000007B40: E05C1400 8085F8CE
	v_mfma_f32_16x16x16_f16 v[180:183], a[178:179], v[130:131], v[180:183]// 000000007B48: D3CD00B4 0ED305B2
	v_mfma_f32_16x16x16_f16 v[180:183], a[180:181], v[132:133], v[180:183]// 000000007B50: D3CD00B4 0ED309B4
	v_mfma_f32_16x16x16_f16 v[180:183], a[182:183], v[134:135], v[180:183]// 000000007B58: D3CD00B4 0ED30DB6
	v_mfma_f32_16x16x16_f16 v[180:183], a[184:185], v[136:137], v[180:183]// 000000007B60: D3CD00B4 0ED311B8
	buffer_load_dwordx4 a[252:255], v207, s[20:23], 0 offen offset:1024// 000000007B68: E05C1400 8085FCCF
	v_mfma_f32_16x16x16_f16 v[180:183], a[186:187], v[138:139], v[180:183]// 000000007B70: D3CD00B4 0ED315BA
	v_mfma_f32_16x16x16_f16 v[180:183], a[188:189], v[140:141], v[180:183]// 000000007B78: D3CD00B4 0ED319BC
	v_mfma_f32_16x16x16_f16 v[180:183], a[190:191], v[142:143], v[180:183]// 000000007B80: D3CD00B4 0ED31DBE
	s_lshr_b32 s60, s70, 4                                     // 000000007B88: 8F3C8446
	s_add_u32 s60, 48, s60                                     // 000000007B8C: 803C3CB0
	s_cmp_ge_u32 s60, s73                                      // 000000007B90: BF09493C
	s_cselect_b32 s56, 0, s56                                  // 000000007B94: 85383880
	v_mul_u32_u24_dpp v39, v17, v54 row_newbcast:0 row_mask:0xf bank_mask:0xf// 000000007B98: 104E6CFA FF015011
	v_mul_u32_u24_dpp v40, v17, v54 row_newbcast:4 row_mask:0xf bank_mask:0xf// 000000007BA0: 10506CFA FF015411
	v_mul_u32_u24_dpp v41, v17, v54 row_newbcast:8 row_mask:0xf bank_mask:0xf// 000000007BA8: 10526CFA FF015811
	v_mul_u32_u24_dpp v42, v17, v54 row_newbcast:12 row_mask:0xf bank_mask:0xf// 000000007BB0: 10546CFA FF015C11
	v_add_u32_e32 v23, v39, v6                                 // 000000007BB8: 682E0D27
	v_add_u32_e32 v24, v40, v6                                 // 000000007BBC: 68300D28
	v_add_u32_e32 v25, v41, v6                                 // 000000007BC0: 68320D29
	v_add_u32_e32 v26, v42, v6                                 // 000000007BC4: 68340D2A
	v_mul_u32_u24_dpp v39, v17, v54 row_newbcast:1 row_mask:0xf bank_mask:0xf// 000000007BC8: 104E6CFA FF015111
	v_mul_u32_u24_dpp v40, v17, v54 row_newbcast:2 row_mask:0xf bank_mask:0xf// 000000007BD0: 10506CFA FF015211
	v_mul_u32_u24_dpp v41, v17, v54 row_newbcast:5 row_mask:0xf bank_mask:0xf// 000000007BD8: 10526CFA FF015511
	v_mul_u32_u24_dpp v42, v17, v54 row_newbcast:6 row_mask:0xf bank_mask:0xf// 000000007BE0: 10546CFA FF015611
	v_add_u32_e32 v192, v39, v7                                // 000000007BE8: 69800F27
	v_add_u32_e32 v193, v40, v7                                // 000000007BEC: 69820F28
	v_add_u32_e32 v194, v41, v7                                // 000000007BF0: 69840F29
	v_add_u32_e32 v195, v42, v7                                // 000000007BF4: 69860F2A
	v_mul_u32_u24_dpp v39, v17, v54 row_newbcast:9 row_mask:0xf bank_mask:0xf// 000000007BF8: 104E6CFA FF015911
	v_mul_u32_u24_dpp v40, v17, v54 row_newbcast:10 row_mask:0xf bank_mask:0xf// 000000007C00: 10506CFA FF015A11
	v_mul_u32_u24_dpp v41, v17, v54 row_newbcast:13 row_mask:0xf bank_mask:0xf// 000000007C08: 10526CFA FF015D11
	v_mul_u32_u24_dpp v42, v17, v54 row_newbcast:7 row_mask:0xf bank_mask:0xf// 000000007C10: 10546CFA FF015711
	v_add_u32_e32 v196, v39, v7                                // 000000007C18: 69880F27
	v_add_u32_e32 v197, v40, v7                                // 000000007C1C: 698A0F28
	v_add_u32_e32 v198, v41, v7                                // 000000007C20: 698C0F29
	v_add_u32_e32 v199, v42, v7                                // 000000007C24: 698E0F2A
	v_add_u32_e32 v1, s56, v1                                  // 000000007C28: 68020238
	s_addk_i32 s70, 0x100                                      // 000000007C2C: B7460100
	s_cmp_lt_i32 s70, s71                                      // 000000007C30: BF044746
	s_cbranch_scc0 label_1446                                  // 000000007C34: BF84FDB7
	s_waitcnt vmcnt(16) lgkmcnt(0)                             // 000000007C38: BF8C4070
	v_mfma_f32_16x16x16_f16 v[112:115], a[64:65], v[80:81], 0  // 000000007C3C: D3CD0070 0A02A140
	buffer_load_dwordx4 a[0:3], v23, s[16:19], 0 offen         // 000000007C44: E05C1000 80840017
	v_mfma_f32_16x16x16_f16 v[112:115], a[66:67], v[82:83], v[112:115]// 000000007C4C: D3CD0070 0DC2A542
	v_mfma_f32_16x16x16_f16 v[112:115], a[68:69], v[84:85], v[112:115]// 000000007C54: D3CD0070 0DC2A944
	buffer_load_dword v18, v1, s[24:27], 0 offen               // 000000007C5C: E0501000 80061201
	v_mfma_f32_16x16x16_f16 v[112:115], a[70:71], v[86:87], v[112:115]// 000000007C64: D3CD0070 0DC2AD46
	v_mfma_f32_16x16x16_f16 v[112:115], a[72:73], v[88:89], v[112:115]// 000000007C6C: D3CD0070 0DC2B148
	buffer_load_dwordx4 a[4:7], v23, s[16:19], 0 offen offset:1024// 000000007C74: E05C1400 80840417
	v_mfma_f32_16x16x16_f16 v[112:115], a[74:75], v[90:91], v[112:115]// 000000007C7C: D3CD0070 0DC2B54A
	v_mfma_f32_16x16x16_f16 v[112:115], a[76:77], v[92:93], v[112:115]// 000000007C84: D3CD0070 0DC2B94C
	v_mfma_f32_16x16x16_f16 v[112:115], a[78:79], v[94:95], v[112:115]// 000000007C8C: D3CD0070 0DC2BD4E
	v_mfma_f32_16x16x16_f16 v[116:119], a[80:81], v[80:81], 0  // 000000007C94: D3CD0074 0A02A150
	buffer_load_dwordx4 a[8:11], v23, s[16:19], 0 offen offset:2048// 000000007C9C: E05C1800 80840817
	v_mfma_f32_16x16x16_f16 v[116:119], a[82:83], v[82:83], v[116:119]// 000000007CA4: D3CD0074 0DD2A552
	v_mfma_f32_16x16x16_f16 v[116:119], a[84:85], v[84:85], v[116:119]// 000000007CAC: D3CD0074 0DD2A954
	v_mfma_f32_16x16x16_f16 v[116:119], a[86:87], v[86:87], v[116:119]// 000000007CB4: D3CD0074 0DD2AD56
	v_mfma_f32_16x16x16_f16 v[116:119], a[88:89], v[88:89], v[116:119]// 000000007CBC: D3CD0074 0DD2B158
	buffer_load_dwordx4 a[12:15], v23, s[16:19], 0 offen offset:3072// 000000007CC4: E05C1C00 80840C17
	v_mfma_f32_16x16x16_f16 v[116:119], a[90:91], v[90:91], v[116:119]// 000000007CCC: D3CD0074 0DD2B55A
	v_mfma_f32_16x16x16_f16 v[116:119], a[92:93], v[92:93], v[116:119]// 000000007CD4: D3CD0074 0DD2B95C
	v_mfma_f32_16x16x16_f16 v[116:119], a[94:95], v[94:95], v[116:119]// 000000007CDC: D3CD0074 0DD2BD5E
	v_mfma_f32_16x16x16_f16 v[120:123], a[96:97], v[80:81], 0  // 000000007CE4: D3CD0078 0A02A160
	buffer_load_dwordx4 a[16:19], v24, s[16:19], 0 offen       // 000000007CEC: E05C1000 80841018
	v_mfma_f32_16x16x16_f16 v[120:123], a[98:99], v[82:83], v[120:123]// 000000007CF4: D3CD0078 0DE2A562
	v_mfma_f32_16x16x16_f16 v[120:123], a[100:101], v[84:85], v[120:123]// 000000007CFC: D3CD0078 0DE2A964
	v_mfma_f32_16x16x16_f16 v[120:123], a[102:103], v[86:87], v[120:123]// 000000007D04: D3CD0078 0DE2AD66
	v_mfma_f32_16x16x16_f16 v[120:123], a[104:105], v[88:89], v[120:123]// 000000007D0C: D3CD0078 0DE2B168
	buffer_load_dwordx4 a[20:23], v24, s[16:19], 0 offen offset:1024// 000000007D14: E05C1400 80841418
	v_mfma_f32_16x16x16_f16 v[120:123], a[106:107], v[90:91], v[120:123]// 000000007D1C: D3CD0078 0DE2B56A
	v_mfma_f32_16x16x16_f16 v[120:123], a[108:109], v[92:93], v[120:123]// 000000007D24: D3CD0078 0DE2B96C
	v_mfma_f32_16x16x16_f16 v[120:123], a[110:111], v[94:95], v[120:123]// 000000007D2C: D3CD0078 0DE2BD6E
	v_mfma_f32_16x16x16_f16 v[124:127], a[112:113], v[80:81], 0// 000000007D34: D3CD007C 0A02A170
	buffer_load_dwordx4 a[24:27], v24, s[16:19], 0 offen offset:2048// 000000007D3C: E05C1800 80841818
	v_mfma_f32_16x16x16_f16 v[124:127], a[114:115], v[82:83], v[124:127]// 000000007D44: D3CD007C 0DF2A572
	v_mfma_f32_16x16x16_f16 v[124:127], a[116:117], v[84:85], v[124:127]// 000000007D4C: D3CD007C 0DF2A974
	v_mfma_f32_16x16x16_f16 v[124:127], a[118:119], v[86:87], v[124:127]// 000000007D54: D3CD007C 0DF2AD76
	v_mfma_f32_16x16x16_f16 v[124:127], a[120:121], v[88:89], v[124:127]// 000000007D5C: D3CD007C 0DF2B178
	buffer_load_dwordx4 a[28:31], v24, s[16:19], 0 offen offset:3072// 000000007D64: E05C1C00 80841C18
	v_mfma_f32_16x16x16_f16 v[124:127], a[122:123], v[90:91], v[124:127]// 000000007D6C: D3CD007C 0DF2B57A
	v_mfma_f32_16x16x16_f16 v[124:127], a[124:125], v[92:93], v[124:127]// 000000007D74: D3CD007C 0DF2B97C
	v_mfma_f32_16x16x16_f16 v[124:127], a[126:127], v[94:95], v[124:127]// 000000007D7C: D3CD007C 0DF2BD7E
	s_cmp_le_i32 s90, s89                                      // 000000007D84: BF05595A
	s_cbranch_scc1 label_1757                                  // 000000007D88: BF850073
	v_mov_b32_e32 v55, 0xff800000                              // 000000007D8C: 7E6E02FF FF800000
	s_mov_b32 s60, s90                                         // 000000007D94: BEBC005A
	s_add_u32 s61, s89, 0xff                                   // 000000007D98: 803DFF59 000000FF
	v_mov_b32_e32 v39, s61                                     // 000000007DA0: 7E4E023D
	v_lshrrev_b32_e32 v31, 4, v0                               // 000000007DA4: 203E0084
	v_mul_i32_i24_e32 v31, 4, v31                              // 000000007DA8: 0C3E3E84
	v_add_u32_e32 v31, s60, v31                                // 000000007DAC: 683E3E3C
	v_and_b32_e32 v40, 15, v0                                  // 000000007DB0: 2650008F
	v_lshrrev_b32_e32 v40, 3, v40                              // 000000007DB4: 20505083
	s_mov_b32 s61, 0                                           // 000000007DB8: BEBD0080
	s_mul_i32 s60, 16, s7                                      // 000000007DBC: 923C0790
	v_add_u32_e32 v40, s61, v40                                // 000000007DC0: 6850503D
	v_sub_u32_e32 v31, v31, v40                                // 000000007DC4: 6A3E511F
	v_add_u32_e32 v31, s60, v31                                // 000000007DC8: 683E3E3C
	v_add_u32_e32 v32, 1, v31                                  // 000000007DCC: 68403E81
	v_add_u32_e32 v33, 2, v31                                  // 000000007DD0: 68423E82
	v_add_u32_e32 v34, 3, v31                                  // 000000007DD4: 68443E83
	v_cmp_le_u32_e64 s[40:41], v31, v39                        // 000000007DD8: D0CB0028 00024F1F
	v_add_u32_e32 v31, 64, v31                                 // 000000007DE0: 683E3EC0
	s_nop 0                                                    // 000000007DE4: BF800000
	v_cndmask_b32_e64 v112, v55, v112, s[40:41]                // 000000007DE8: D1000070 00A2E137
	v_cmp_le_u32_e64 s[40:41], v32, v39                        // 000000007DF0: D0CB0028 00024F20
	v_add_u32_e32 v32, 64, v32                                 // 000000007DF8: 684040C0
	s_nop 0                                                    // 000000007DFC: BF800000
	v_cndmask_b32_e64 v113, v55, v113, s[40:41]                // 000000007E00: D1000071 00A2E337
	v_cmp_le_u32_e64 s[40:41], v33, v39                        // 000000007E08: D0CB0028 00024F21
	v_add_u32_e32 v33, 64, v33                                 // 000000007E10: 684242C0
	s_nop 0                                                    // 000000007E14: BF800000
	v_cndmask_b32_e64 v114, v55, v114, s[40:41]                // 000000007E18: D1000072 00A2E537
	v_cmp_le_u32_e64 s[40:41], v34, v39                        // 000000007E20: D0CB0028 00024F22
	v_add_u32_e32 v34, 64, v34                                 // 000000007E28: 684444C0
	s_nop 0                                                    // 000000007E2C: BF800000
	v_cndmask_b32_e64 v115, v55, v115, s[40:41]                // 000000007E30: D1000073 00A2E737
	v_cmp_le_u32_e64 s[40:41], v31, v39                        // 000000007E38: D0CB0028 00024F1F
	v_add_u32_e32 v31, 64, v31                                 // 000000007E40: 683E3EC0
	s_nop 0                                                    // 000000007E44: BF800000
	v_cndmask_b32_e64 v116, v55, v116, s[40:41]                // 000000007E48: D1000074 00A2E937
	v_cmp_le_u32_e64 s[40:41], v32, v39                        // 000000007E50: D0CB0028 00024F20
	v_add_u32_e32 v32, 64, v32                                 // 000000007E58: 684040C0
	s_nop 0                                                    // 000000007E5C: BF800000
	v_cndmask_b32_e64 v117, v55, v117, s[40:41]                // 000000007E60: D1000075 00A2EB37
	v_cmp_le_u32_e64 s[40:41], v33, v39                        // 000000007E68: D0CB0028 00024F21
	v_add_u32_e32 v33, 64, v33                                 // 000000007E70: 684242C0
	s_nop 0                                                    // 000000007E74: BF800000
	v_cndmask_b32_e64 v118, v55, v118, s[40:41]                // 000000007E78: D1000076 00A2ED37
	v_cmp_le_u32_e64 s[40:41], v34, v39                        // 000000007E80: D0CB0028 00024F22
	v_add_u32_e32 v34, 64, v34                                 // 000000007E88: 684444C0
	s_nop 0                                                    // 000000007E8C: BF800000
	v_cndmask_b32_e64 v119, v55, v119, s[40:41]                // 000000007E90: D1000077 00A2EF37
	v_cmp_le_u32_e64 s[40:41], v31, v39                        // 000000007E98: D0CB0028 00024F1F
	v_add_u32_e32 v31, 64, v31                                 // 000000007EA0: 683E3EC0
	s_nop 0                                                    // 000000007EA4: BF800000
	v_cndmask_b32_e64 v120, v55, v120, s[40:41]                // 000000007EA8: D1000078 00A2F137
	v_cmp_le_u32_e64 s[40:41], v32, v39                        // 000000007EB0: D0CB0028 00024F20
	v_add_u32_e32 v32, 64, v32                                 // 000000007EB8: 684040C0
	s_nop 0                                                    // 000000007EBC: BF800000
	v_cndmask_b32_e64 v121, v55, v121, s[40:41]                // 000000007EC0: D1000079 00A2F337
	v_cmp_le_u32_e64 s[40:41], v33, v39                        // 000000007EC8: D0CB0028 00024F21
	v_add_u32_e32 v33, 64, v33                                 // 000000007ED0: 684242C0
	s_nop 0                                                    // 000000007ED4: BF800000
	v_cndmask_b32_e64 v122, v55, v122, s[40:41]                // 000000007ED8: D100007A 00A2F537
	v_cmp_le_u32_e64 s[40:41], v34, v39                        // 000000007EE0: D0CB0028 00024F22
	v_add_u32_e32 v34, 64, v34                                 // 000000007EE8: 684444C0
	s_nop 0                                                    // 000000007EEC: BF800000
	v_cndmask_b32_e64 v123, v55, v123, s[40:41]                // 000000007EF0: D100007B 00A2F737
	v_cmp_le_u32_e64 s[40:41], v31, v39                        // 000000007EF8: D0CB0028 00024F1F
	v_add_u32_e32 v31, 64, v31                                 // 000000007F00: 683E3EC0
	s_nop 0                                                    // 000000007F04: BF800000
	v_cndmask_b32_e64 v124, v55, v124, s[40:41]                // 000000007F08: D100007C 00A2F937
	v_cmp_le_u32_e64 s[40:41], v32, v39                        // 000000007F10: D0CB0028 00024F20
	v_add_u32_e32 v32, 64, v32                                 // 000000007F18: 684040C0
	s_nop 0                                                    // 000000007F1C: BF800000
	v_cndmask_b32_e64 v125, v55, v125, s[40:41]                // 000000007F20: D100007D 00A2FB37
	v_cmp_le_u32_e64 s[40:41], v33, v39                        // 000000007F28: D0CB0028 00024F21
	v_add_u32_e32 v33, 64, v33                                 // 000000007F30: 684242C0
	s_nop 0                                                    // 000000007F34: BF800000
	v_cndmask_b32_e64 v126, v55, v126, s[40:41]                // 000000007F38: D100007E 00A2FD37
	v_cmp_le_u32_e64 s[40:41], v34, v39                        // 000000007F40: D0CB0028 00024F22
	v_add_u32_e32 v34, 64, v34                                 // 000000007F48: 684444C0
	s_nop 0                                                    // 000000007F4C: BF800000
	v_cndmask_b32_e64 v127, v55, v127, s[40:41]                // 000000007F50: D100007F 00A2FF37

0000000000007f58 <label_1757>:
	s_add_u32 s90, s91, s90                                    // 000000007F58: 805A5A5B
	s_nop 0                                                    // 000000007F5C: BF800000
	buffer_load_dwordx4 a[32:35], v25, s[16:19], 0 offen       // 000000007F60: E05C1000 80842019
	s_nop 8                                                    // 000000007F68: BF800008
	buffer_load_dwordx4 a[36:39], v25, s[16:19], 0 offen offset:1024// 000000007F6C: E05C1400 80842419
	v_mov_b32_e32 v50, v112                                    // 000000007F74: 7E640370
	v_max3_f32 v50, v112, v113, v50                            // 000000007F78: D1D30032 04CAE370
	v_max3_f32 v50, v114, v115, v50                            // 000000007F80: D1D30032 04CAE772
	v_max3_f32 v50, v116, v117, v50                            // 000000007F88: D1D30032 04CAEB74
	v_max3_f32 v50, v118, v119, v50                            // 000000007F90: D1D30032 04CAEF76
	v_max3_f32 v50, v120, v121, v50                            // 000000007F98: D1D30032 04CAF378
	v_max3_f32 v50, v122, v123, v50                            // 000000007FA0: D1D30032 04CAF77A
	v_max3_f32 v50, v124, v125, v50                            // 000000007FA8: D1D30032 04CAFB7C
	v_max3_f32 v50, v126, v127, v50                            // 000000007FB0: D1D30032 04CAFF7E
	ds_write_b32 v11, v50                                      // 000000007FB8: D81A0000 0000320B
	buffer_load_dwordx4 a[40:43], v25, s[16:19], 0 offen offset:2048// 000000007FC0: E05C1800 80842819
	s_waitcnt lgkmcnt(0)                                       // 000000007FC8: BF8CC07F
	s_barrier                                                  // 000000007FCC: BF8A0000
	ds_read_b32 v64, v10                                       // 000000007FD0: D86C0000 4000000A
	buffer_load_dwordx4 a[44:47], v25, s[16:19], 0 offen offset:3072// 000000007FD8: E05C1C00 80842C19
	ds_read_b32 v65, v10 offset:64                             // 000000007FE0: D86C0040 4100000A
	ds_read_b32 v66, v10 offset:128                            // 000000007FE8: D86C0080 4200000A
	ds_read_b32 v67, v10 offset:192                            // 000000007FF0: D86C00C0 4300000A
	ds_read_b32 v68, v10 offset:256                            // 000000007FF8: D86C0100 4400000A
	ds_read_b32 v69, v10 offset:320                            // 000000008000: D86C0140 4500000A
	ds_read_b32 v70, v10 offset:384                            // 000000008008: D86C0180 4600000A
	ds_read_b32 v71, v10 offset:448                            // 000000008010: D86C01C0 4700000A
	ds_read_b32 v72, v10 offset:512                            // 000000008018: D86C0200 4800000A
	buffer_load_dwordx4 a[48:51], v26, s[16:19], 0 offen       // 000000008020: E05C1000 8084301A
	ds_read_b32 v73, v10 offset:576                            // 000000008028: D86C0240 4900000A
	ds_read_b32 v74, v10 offset:640                            // 000000008030: D86C0280 4A00000A
	ds_read_b32 v75, v10 offset:704                            // 000000008038: D86C02C0 4B00000A
	ds_read_b32 v76, v10 offset:768                            // 000000008040: D86C0300 4C00000A
	ds_read_b32 v77, v10 offset:832                            // 000000008048: D86C0340 4D00000A
	ds_read_b32 v78, v10 offset:896                            // 000000008050: D86C0380 4E00000A
	ds_read_b32 v79, v10 offset:960                            // 000000008058: D86C03C0 4F00000A
	buffer_load_dwordx4 a[52:55], v26, s[16:19], 0 offen offset:1024// 000000008060: E05C1400 8084341A
	buffer_load_dwordx4 a[56:59], v26, s[16:19], 0 offen offset:2048// 000000008068: E05C1800 8084381A
	s_waitcnt lgkmcnt(0)                                       // 000000008070: BF8CC07F
	v_max3_f32 v50, v64, v65, v50                              // 000000008074: D1D30032 04CA8340
	v_max3_f32 v50, v66, v67, v50                              // 00000000807C: D1D30032 04CA8742
	v_max3_f32 v50, v68, v69, v50                              // 000000008084: D1D30032 04CA8B44
	v_max3_f32 v50, v70, v71, v50                              // 00000000808C: D1D30032 04CA8F46
	v_max3_f32 v50, v72, v73, v50                              // 000000008094: D1D30032 04CA9348
	v_max3_f32 v50, v74, v75, v50                              // 00000000809C: D1D30032 04CA974A
	v_max3_f32 v50, v76, v77, v50                              // 0000000080A4: D1D30032 04CA9B4C
	v_max3_f32 v50, v78, v79, v50                              // 0000000080AC: D1D30032 04CA9F4E
	buffer_load_dwordx4 a[60:63], v26, s[16:19], 0 offen offset:3072// 0000000080B4: E05C1C00 80843C1A
	v_cmp_eq_u32_e64 s[40:41], v55, v14                        // 0000000080BC: D0CA0028 00021D37
	s_nop 1                                                    // 0000000080C4: BF800001
	v_max_f32_e32 v16, v50, v14                                // 0000000080C8: 16201D32
	v_sub_f32_e32 v51, v14, v16                                // 0000000080CC: 0466210E
	v_cndmask_b32_e64 v51, v51, 0, s[40:41]                    // 0000000080D0: D1000033 00A10133
	v_mov_b32_e32 v14, v16                                     // 0000000080D8: 7E1C0310
	v_mul_f32_e32 v53, s64, v16                                // 0000000080DC: 0A6A2040
	v_mul_f32_e32 v51, s64, v51                                // 0000000080E0: 0A666640
	v_exp_f32_e32 v51, v51                                     // 0000000080E4: 7E664133
	buffer_load_dwordx4 a[128:131], v192, s[20:23], 0 offen    // 0000000080E8: E05C1000 808580C0
	v_fma_f32 v112, v112, s64, -v53                            // 0000000080F0: D1CB0070 84D48170
	v_fma_f32 v113, v113, s64, -v53                            // 0000000080F8: D1CB0071 84D48171
	v_fma_f32 v114, v114, s64, -v53                            // 000000008100: D1CB0072 84D48172
	v_fma_f32 v115, v115, s64, -v53                            // 000000008108: D1CB0073 84D48173
	v_fma_f32 v116, v116, s64, -v53                            // 000000008110: D1CB0074 84D48174
	v_fma_f32 v117, v117, s64, -v53                            // 000000008118: D1CB0075 84D48175
	v_fma_f32 v118, v118, s64, -v53                            // 000000008120: D1CB0076 84D48176
	v_fma_f32 v119, v119, s64, -v53                            // 000000008128: D1CB0077 84D48177
	v_fma_f32 v120, v120, s64, -v53                            // 000000008130: D1CB0078 84D48178
	v_fma_f32 v121, v121, s64, -v53                            // 000000008138: D1CB0079 84D48179
	v_fma_f32 v122, v122, s64, -v53                            // 000000008140: D1CB007A 84D4817A
	v_fma_f32 v123, v123, s64, -v53                            // 000000008148: D1CB007B 84D4817B
	v_fma_f32 v124, v124, s64, -v53                            // 000000008150: D1CB007C 84D4817C
	v_fma_f32 v125, v125, s64, -v53                            // 000000008158: D1CB007D 84D4817D
	v_fma_f32 v126, v126, s64, -v53                            // 000000008160: D1CB007E 84D4817E
	v_fma_f32 v127, v127, s64, -v53                            // 000000008168: D1CB007F 84D4817F
	v_exp_f32_e32 v112, v112                                   // 000000008170: 7EE04170
	v_exp_f32_e32 v113, v113                                   // 000000008174: 7EE24171
	v_exp_f32_e32 v114, v114                                   // 000000008178: 7EE44172
	v_exp_f32_e32 v115, v115                                   // 00000000817C: 7EE64173
	v_exp_f32_e32 v116, v116                                   // 000000008180: 7EE84174
	v_exp_f32_e32 v117, v117                                   // 000000008184: 7EEA4175
	v_exp_f32_e32 v118, v118                                   // 000000008188: 7EEC4176
	v_exp_f32_e32 v119, v119                                   // 00000000818C: 7EEE4177
	v_exp_f32_e32 v120, v120                                   // 000000008190: 7EF04178
	v_exp_f32_e32 v121, v121                                   // 000000008194: 7EF24179
	v_exp_f32_e32 v122, v122                                   // 000000008198: 7EF4417A
	v_exp_f32_e32 v123, v123                                   // 00000000819C: 7EF6417B
	v_exp_f32_e32 v124, v124                                   // 0000000081A0: 7EF8417C
	v_exp_f32_e32 v125, v125                                   // 0000000081A4: 7EFA417D
	v_exp_f32_e32 v126, v126                                   // 0000000081A8: 7EFC417E
	v_exp_f32_e32 v127, v127                                   // 0000000081AC: 7EFE417F
	buffer_load_dwordx4 a[132:135], v193, s[20:23], 0 offen    // 0000000081B0: E05C1000 808584C1
	v_mul_f32_e32 v43, v51, v43                                // 0000000081B8: 0A565733
	v_mov_b32_e32 v45, v112                                    // 0000000081BC: 7E5A0370
	v_add_f32_e32 v45, v113, v45                               // 0000000081C0: 025A5B71
	v_add_f32_e32 v45, v114, v45                               // 0000000081C4: 025A5B72
	v_add_f32_e32 v45, v115, v45                               // 0000000081C8: 025A5B73
	v_add_f32_e32 v45, v116, v45                               // 0000000081CC: 025A5B74
	v_add_f32_e32 v45, v117, v45                               // 0000000081D0: 025A5B75
	v_add_f32_e32 v45, v118, v45                               // 0000000081D4: 025A5B76
	v_add_f32_e32 v45, v119, v45                               // 0000000081D8: 025A5B77
	v_add_f32_e32 v45, v120, v45                               // 0000000081DC: 025A5B78
	v_add_f32_e32 v45, v121, v45                               // 0000000081E0: 025A5B79
	v_add_f32_e32 v45, v122, v45                               // 0000000081E4: 025A5B7A
	v_add_f32_e32 v45, v123, v45                               // 0000000081E8: 025A5B7B
	v_add_f32_e32 v45, v124, v45                               // 0000000081EC: 025A5B7C
	v_add_f32_e32 v45, v125, v45                               // 0000000081F0: 025A5B7D
	v_add_f32_e32 v45, v126, v45                               // 0000000081F4: 025A5B7E
	v_add_f32_e32 v45, v127, v45                               // 0000000081F8: 025A5B7F
	v_add_f32_e32 v43, v45, v43                                // 0000000081FC: 0256572D
	buffer_load_dwordx4 a[136:139], v194, s[20:23], 0 offen    // 000000008200: E05C1000 808588C2
	v_cvt_pkrtz_f16_f32 v39, v112, v113                        // 000000008208: D2960027 0002E370
	v_mov_b32_e32 v112, v39                                    // 000000008210: 7EE00327
	v_cvt_pkrtz_f16_f32 v39, v114, v115                        // 000000008214: D2960027 0002E772
	v_mov_b32_e32 v113, v39                                    // 00000000821C: 7EE20327
	v_cvt_pkrtz_f16_f32 v39, v116, v117                        // 000000008220: D2960027 0002EB74
	v_mov_b32_e32 v114, v39                                    // 000000008228: 7EE40327
	v_cvt_pkrtz_f16_f32 v39, v118, v119                        // 00000000822C: D2960027 0002EF76
	v_mov_b32_e32 v115, v39                                    // 000000008234: 7EE60327
	v_cvt_pkrtz_f16_f32 v39, v120, v121                        // 000000008238: D2960027 0002F378
	v_mov_b32_e32 v116, v39                                    // 000000008240: 7EE80327
	v_cvt_pkrtz_f16_f32 v39, v122, v123                        // 000000008244: D2960027 0002F77A
	v_mov_b32_e32 v117, v39                                    // 00000000824C: 7EEA0327
	v_cvt_pkrtz_f16_f32 v39, v124, v125                        // 000000008250: D2960027 0002FB7C
	v_mov_b32_e32 v118, v39                                    // 000000008258: 7EEC0327
	v_cvt_pkrtz_f16_f32 v39, v126, v127                        // 00000000825C: D2960027 0002FF7E
	v_mov_b32_e32 v119, v39                                    // 000000008264: 7EEE0327
	buffer_load_dwordx4 a[140:143], v195, s[20:23], 0 offen    // 000000008268: E05C1000 80858CC3
	buffer_load_dwordx4 a[144:147], v196, s[20:23], 0 offen    // 000000008270: E05C1000 808590C4
	ds_write_b64 v13, v[112:113] offset:4096                   // 000000008278: D89A1000 0000700D
	ds_write_b64 v13, v[114:115] offset:6144                   // 000000008280: D89A1800 0000720D
	ds_write_b64 v13, v[116:117] offset:8192                   // 000000008288: D89A2000 0000740D
	ds_write_b64 v13, v[118:119] offset:10240                  // 000000008290: D89A2800 0000760D
	buffer_load_dwordx4 a[148:151], v197, s[20:23], 0 offen    // 000000008298: E05C1000 808594C5
	s_waitcnt lgkmcnt(0)                                       // 0000000082A0: BF8CC07F
	s_barrier                                                  // 0000000082A4: BF8A0000
	ds_read_b64 v[112:113], v12 offset:4096                    // 0000000082A8: D8EC1000 7000000C
	ds_read_b64 v[114:115], v12 offset:4224                    // 0000000082B0: D8EC1080 7200000C
	ds_read_b64 v[116:117], v12 offset:5120                    // 0000000082B8: D8EC1400 7400000C
	ds_read_b64 v[118:119], v12 offset:5248                    // 0000000082C0: D8EC1480 7600000C
	ds_read_b64 v[120:121], v12 offset:6144                    // 0000000082C8: D8EC1800 7800000C
	ds_read_b64 v[122:123], v12 offset:6272                    // 0000000082D0: D8EC1880 7A00000C
	ds_read_b64 v[124:125], v12 offset:7168                    // 0000000082D8: D8EC1C00 7C00000C
	ds_read_b64 v[126:127], v12 offset:7296                    // 0000000082E0: D8EC1C80 7E00000C
	ds_read_b64 v[128:129], v12 offset:8192                    // 0000000082E8: D8EC2000 8000000C
	ds_read_b64 v[130:131], v12 offset:8320                    // 0000000082F0: D8EC2080 8200000C
	ds_read_b64 v[132:133], v12 offset:9216                    // 0000000082F8: D8EC2400 8400000C
	ds_read_b64 v[134:135], v12 offset:9344                    // 000000008300: D8EC2480 8600000C
	ds_read_b64 v[136:137], v12 offset:10240                   // 000000008308: D8EC2800 8800000C
	ds_read_b64 v[138:139], v12 offset:10368                   // 000000008310: D8EC2880 8A00000C
	ds_read_b64 v[140:141], v12 offset:11264                   // 000000008318: D8EC2C00 8C00000C
	ds_read_b64 v[142:143], v12 offset:11392                   // 000000008320: D8EC2C80 8E00000C
	buffer_load_dwordx4 a[152:155], v198, s[20:23], 0 offen    // 000000008328: E05C1000 808598C6
	buffer_load_dwordx4 a[156:159], v199, s[20:23], 0 offen    // 000000008330: E05C1000 80859CC7
	s_waitcnt lgkmcnt(0)                                       // 000000008338: BF8CC07F
	v_mul_f32_e32 v176, v51, v176                              // 00000000833C: 0B616133
	v_mul_f32_e32 v177, v51, v177                              // 000000008340: 0B636333
	v_mul_f32_e32 v178, v51, v178                              // 000000008344: 0B656533
	v_mul_f32_e32 v179, v51, v179                              // 000000008348: 0B676733
	v_mul_f32_e32 v180, v51, v180                              // 00000000834C: 0B696933
	v_mul_f32_e32 v181, v51, v181                              // 000000008350: 0B6B6B33
	v_mul_f32_e32 v182, v51, v182                              // 000000008354: 0B6D6D33
	v_mul_f32_e32 v183, v51, v183                              // 000000008358: 0B6F6F33
	s_waitcnt vmcnt(24)                                        // 00000000835C: BF8C4F78
	v_mfma_f32_16x16x16_f16 v[176:179], a[192:193], v[112:113], v[176:179]// 000000008360: D3CD00B0 0EC2E1C0
	buffer_load_dwordx4 a[160:163], v192, s[20:23], 0 offen offset:1024// 000000008368: E05C1400 8085A0C0
	v_mfma_f32_16x16x16_f16 v[176:179], a[194:195], v[114:115], v[176:179]// 000000008370: D3CD00B0 0EC2E5C2
	v_mfma_f32_16x16x16_f16 v[176:179], a[196:197], v[116:117], v[176:179]// 000000008378: D3CD00B0 0EC2E9C4
	v_mfma_f32_16x16x16_f16 v[176:179], a[198:199], v[118:119], v[176:179]// 000000008380: D3CD00B0 0EC2EDC6
	v_mfma_f32_16x16x16_f16 v[176:179], a[200:201], v[120:121], v[176:179]// 000000008388: D3CD00B0 0EC2F1C8
	buffer_load_dwordx4 a[164:167], v193, s[20:23], 0 offen offset:1024// 000000008390: E05C1400 8085A4C1
	v_mfma_f32_16x16x16_f16 v[176:179], a[202:203], v[122:123], v[176:179]// 000000008398: D3CD00B0 0EC2F5CA
	v_mfma_f32_16x16x16_f16 v[176:179], a[204:205], v[124:125], v[176:179]// 0000000083A0: D3CD00B0 0EC2F9CC
	v_mfma_f32_16x16x16_f16 v[176:179], a[206:207], v[126:127], v[176:179]// 0000000083A8: D3CD00B0 0EC2FDCE
	v_mfma_f32_16x16x16_f16 v[176:179], a[208:209], v[128:129], v[176:179]// 0000000083B0: D3CD00B0 0EC301D0
	buffer_load_dwordx4 a[168:171], v194, s[20:23], 0 offen offset:1024// 0000000083B8: E05C1400 8085A8C2
	v_mfma_f32_16x16x16_f16 v[176:179], a[210:211], v[130:131], v[176:179]// 0000000083C0: D3CD00B0 0EC305D2
	v_mfma_f32_16x16x16_f16 v[176:179], a[212:213], v[132:133], v[176:179]// 0000000083C8: D3CD00B0 0EC309D4
	v_mfma_f32_16x16x16_f16 v[176:179], a[214:215], v[134:135], v[176:179]// 0000000083D0: D3CD00B0 0EC30DD6
	v_mfma_f32_16x16x16_f16 v[176:179], a[216:217], v[136:137], v[176:179]// 0000000083D8: D3CD00B0 0EC311D8
	buffer_load_dwordx4 a[172:175], v195, s[20:23], 0 offen offset:1024// 0000000083E0: E05C1400 8085ACC3
	v_mfma_f32_16x16x16_f16 v[176:179], a[218:219], v[138:139], v[176:179]// 0000000083E8: D3CD00B0 0EC315DA
	v_mfma_f32_16x16x16_f16 v[176:179], a[220:221], v[140:141], v[176:179]// 0000000083F0: D3CD00B0 0EC319DC
	v_mfma_f32_16x16x16_f16 v[176:179], a[222:223], v[142:143], v[176:179]// 0000000083F8: D3CD00B0 0EC31DDE
	v_mfma_f32_16x16x16_f16 v[180:183], a[224:225], v[112:113], v[180:183]// 000000008400: D3CD00B4 0ED2E1E0
	buffer_load_dwordx4 a[176:179], v196, s[20:23], 0 offen offset:1024// 000000008408: E05C1400 8085B0C4
	v_mfma_f32_16x16x16_f16 v[180:183], a[226:227], v[114:115], v[180:183]// 000000008410: D3CD00B4 0ED2E5E2
	v_mfma_f32_16x16x16_f16 v[180:183], a[228:229], v[116:117], v[180:183]// 000000008418: D3CD00B4 0ED2E9E4
	v_mfma_f32_16x16x16_f16 v[180:183], a[230:231], v[118:119], v[180:183]// 000000008420: D3CD00B4 0ED2EDE6
	v_mfma_f32_16x16x16_f16 v[180:183], a[232:233], v[120:121], v[180:183]// 000000008428: D3CD00B4 0ED2F1E8
	buffer_load_dwordx4 a[180:183], v197, s[20:23], 0 offen offset:1024// 000000008430: E05C1400 8085B4C5
	v_mfma_f32_16x16x16_f16 v[180:183], a[234:235], v[122:123], v[180:183]// 000000008438: D3CD00B4 0ED2F5EA
	v_mfma_f32_16x16x16_f16 v[180:183], a[236:237], v[124:125], v[180:183]// 000000008440: D3CD00B4 0ED2F9EC
	v_mfma_f32_16x16x16_f16 v[180:183], a[238:239], v[126:127], v[180:183]// 000000008448: D3CD00B4 0ED2FDEE
	v_mfma_f32_16x16x16_f16 v[180:183], a[240:241], v[128:129], v[180:183]// 000000008450: D3CD00B4 0ED301F0
	buffer_load_dwordx4 a[184:187], v198, s[20:23], 0 offen offset:1024// 000000008458: E05C1400 8085B8C6
	v_mfma_f32_16x16x16_f16 v[180:183], a[242:243], v[130:131], v[180:183]// 000000008460: D3CD00B4 0ED305F2
	v_mfma_f32_16x16x16_f16 v[180:183], a[244:245], v[132:133], v[180:183]// 000000008468: D3CD00B4 0ED309F4
	v_mfma_f32_16x16x16_f16 v[180:183], a[246:247], v[134:135], v[180:183]// 000000008470: D3CD00B4 0ED30DF6
	v_mfma_f32_16x16x16_f16 v[180:183], a[248:249], v[136:137], v[180:183]// 000000008478: D3CD00B4 0ED311F8
	buffer_load_dwordx4 a[188:191], v199, s[20:23], 0 offen offset:1024// 000000008480: E05C1400 8085BCC7
	v_mfma_f32_16x16x16_f16 v[180:183], a[250:251], v[138:139], v[180:183]// 000000008488: D3CD00B4 0ED315FA
	v_mfma_f32_16x16x16_f16 v[180:183], a[252:253], v[140:141], v[180:183]// 000000008490: D3CD00B4 0ED319FC
	v_mfma_f32_16x16x16_f16 v[180:183], a[254:255], v[142:143], v[180:183]// 000000008498: D3CD00B4 0ED31DFE
	s_lshr_b32 s60, s70, 4                                     // 0000000084A0: 8F3C8446
	s_add_u32 s60, 48, s60                                     // 0000000084A4: 803C3CB0
	s_cmp_ge_u32 s60, s73                                      // 0000000084A8: BF09493C
	s_cselect_b32 s56, 0, s56                                  // 0000000084AC: 85383880
	v_mul_u32_u24_dpp v39, v18, v54 row_newbcast:0 row_mask:0xf bank_mask:0xf// 0000000084B0: 104E6CFA FF015012
	v_mul_u32_u24_dpp v40, v18, v54 row_newbcast:4 row_mask:0xf bank_mask:0xf// 0000000084B8: 10506CFA FF015412
	v_mul_u32_u24_dpp v41, v18, v54 row_newbcast:8 row_mask:0xf bank_mask:0xf// 0000000084C0: 10526CFA FF015812
	v_mul_u32_u24_dpp v42, v18, v54 row_newbcast:12 row_mask:0xf bank_mask:0xf// 0000000084C8: 10546CFA FF015C12
	v_add_u32_e32 v27, v39, v6                                 // 0000000084D0: 68360D27
	v_add_u32_e32 v28, v40, v6                                 // 0000000084D4: 68380D28
	v_add_u32_e32 v29, v41, v6                                 // 0000000084D8: 683A0D29
	v_add_u32_e32 v30, v42, v6                                 // 0000000084DC: 683C0D2A
	v_mul_u32_u24_dpp v39, v18, v54 row_newbcast:1 row_mask:0xf bank_mask:0xf// 0000000084E0: 104E6CFA FF015112
	v_mul_u32_u24_dpp v40, v18, v54 row_newbcast:2 row_mask:0xf bank_mask:0xf// 0000000084E8: 10506CFA FF015212
	v_mul_u32_u24_dpp v41, v18, v54 row_newbcast:5 row_mask:0xf bank_mask:0xf// 0000000084F0: 10526CFA FF015512
	v_mul_u32_u24_dpp v42, v18, v54 row_newbcast:6 row_mask:0xf bank_mask:0xf// 0000000084F8: 10546CFA FF015612
	v_add_u32_e32 v200, v39, v7                                // 000000008500: 69900F27
	v_add_u32_e32 v201, v40, v7                                // 000000008504: 69920F28
	v_add_u32_e32 v202, v41, v7                                // 000000008508: 69940F29
	v_add_u32_e32 v203, v42, v7                                // 00000000850C: 69960F2A
	v_mul_u32_u24_dpp v39, v18, v54 row_newbcast:9 row_mask:0xf bank_mask:0xf// 000000008510: 104E6CFA FF015912
	v_mul_u32_u24_dpp v40, v18, v54 row_newbcast:10 row_mask:0xf bank_mask:0xf// 000000008518: 10506CFA FF015A12
	v_mul_u32_u24_dpp v41, v18, v54 row_newbcast:13 row_mask:0xf bank_mask:0xf// 000000008520: 10526CFA FF015D12
	v_mul_u32_u24_dpp v42, v18, v54 row_newbcast:7 row_mask:0xf bank_mask:0xf// 000000008528: 10546CFA FF015712
	v_add_u32_e32 v204, v39, v7                                // 000000008530: 69980F27
	v_add_u32_e32 v205, v40, v7                                // 000000008534: 699A0F28
	v_add_u32_e32 v206, v41, v7                                // 000000008538: 699C0F29
	v_add_u32_e32 v207, v42, v7                                // 00000000853C: 699E0F2A
	v_add_u32_e32 v1, s56, v1                                  // 000000008540: 68020238
	s_addk_i32 s70, 0x100                                      // 000000008544: B7460100
	s_cmp_lt_i32 s70, s71                                      // 000000008548: BF044746
	s_cbranch_scc0 label_1446                                  // 00000000854C: BF84FB71
	s_branch label_1449                                        // 000000008550: BF82FB73

0000000000008554 <label_18D6>:
	s_lshr_b32 s60, s71, 4                                     // 000000008554: 8F3C8447
	s_cmp_eq_i32 s60, s73                                      // 000000008558: BF00493C
	s_cbranch_scc1 label_1D69                                  // 00000000855C: BF850490

0000000000008560 <label_18D9>:
	s_lshr_b32 s60, s71, 8                                     // 000000008560: 8F3C8847
	s_and_b32 s60, s60, 1                                      // 000000008564: 863C813C
	s_cmp_eq_i32 s60, 1                                        // 000000008568: BF00813C
	s_cbranch_scc1 label_1B23                                  // 00000000856C: BF850246
	s_waitcnt vmcnt(16) lgkmcnt(0)                             // 000000008570: BF8C4070
	s_barrier                                                  // 000000008574: BF8A0000
	v_mfma_f32_16x16x16_f16 v[112:115], a[0:1], v[80:81], 0    // 000000008578: D3CD0070 0A02A100
	v_mfma_f32_16x16x16_f16 v[112:115], a[2:3], v[82:83], v[112:115]// 000000008580: D3CD0070 0DC2A502
	v_mfma_f32_16x16x16_f16 v[112:115], a[4:5], v[84:85], v[112:115]// 000000008588: D3CD0070 0DC2A904
	v_mfma_f32_16x16x16_f16 v[112:115], a[6:7], v[86:87], v[112:115]// 000000008590: D3CD0070 0DC2AD06
	v_mfma_f32_16x16x16_f16 v[112:115], a[8:9], v[88:89], v[112:115]// 000000008598: D3CD0070 0DC2B108
	v_mfma_f32_16x16x16_f16 v[112:115], a[10:11], v[90:91], v[112:115]// 0000000085A0: D3CD0070 0DC2B50A
	v_mfma_f32_16x16x16_f16 v[112:115], a[12:13], v[92:93], v[112:115]// 0000000085A8: D3CD0070 0DC2B90C
	v_mfma_f32_16x16x16_f16 v[112:115], a[14:15], v[94:95], v[112:115]// 0000000085B0: D3CD0070 0DC2BD0E
	v_mfma_f32_16x16x16_f16 v[116:119], a[16:17], v[80:81], 0  // 0000000085B8: D3CD0074 0A02A110
	v_mfma_f32_16x16x16_f16 v[116:119], a[18:19], v[82:83], v[116:119]// 0000000085C0: D3CD0074 0DD2A512
	v_mfma_f32_16x16x16_f16 v[116:119], a[20:21], v[84:85], v[116:119]// 0000000085C8: D3CD0074 0DD2A914
	v_mfma_f32_16x16x16_f16 v[116:119], a[22:23], v[86:87], v[116:119]// 0000000085D0: D3CD0074 0DD2AD16
	v_mfma_f32_16x16x16_f16 v[116:119], a[24:25], v[88:89], v[116:119]// 0000000085D8: D3CD0074 0DD2B118
	v_mfma_f32_16x16x16_f16 v[116:119], a[26:27], v[90:91], v[116:119]// 0000000085E0: D3CD0074 0DD2B51A
	v_mfma_f32_16x16x16_f16 v[116:119], a[28:29], v[92:93], v[116:119]// 0000000085E8: D3CD0074 0DD2B91C
	v_mfma_f32_16x16x16_f16 v[116:119], a[30:31], v[94:95], v[116:119]// 0000000085F0: D3CD0074 0DD2BD1E
	v_mfma_f32_16x16x16_f16 v[120:123], a[32:33], v[80:81], 0  // 0000000085F8: D3CD0078 0A02A120
	v_mfma_f32_16x16x16_f16 v[120:123], a[34:35], v[82:83], v[120:123]// 000000008600: D3CD0078 0DE2A522
	v_mfma_f32_16x16x16_f16 v[120:123], a[36:37], v[84:85], v[120:123]// 000000008608: D3CD0078 0DE2A924
	v_mfma_f32_16x16x16_f16 v[120:123], a[38:39], v[86:87], v[120:123]// 000000008610: D3CD0078 0DE2AD26
	v_mfma_f32_16x16x16_f16 v[120:123], a[40:41], v[88:89], v[120:123]// 000000008618: D3CD0078 0DE2B128
	v_mfma_f32_16x16x16_f16 v[120:123], a[42:43], v[90:91], v[120:123]// 000000008620: D3CD0078 0DE2B52A
	v_mfma_f32_16x16x16_f16 v[120:123], a[44:45], v[92:93], v[120:123]// 000000008628: D3CD0078 0DE2B92C
	v_mfma_f32_16x16x16_f16 v[120:123], a[46:47], v[94:95], v[120:123]// 000000008630: D3CD0078 0DE2BD2E
	v_mfma_f32_16x16x16_f16 v[124:127], a[48:49], v[80:81], 0  // 000000008638: D3CD007C 0A02A130
	v_mfma_f32_16x16x16_f16 v[124:127], a[50:51], v[82:83], v[124:127]// 000000008640: D3CD007C 0DF2A532
	v_mfma_f32_16x16x16_f16 v[124:127], a[52:53], v[84:85], v[124:127]// 000000008648: D3CD007C 0DF2A934
	v_mfma_f32_16x16x16_f16 v[124:127], a[54:55], v[86:87], v[124:127]// 000000008650: D3CD007C 0DF2AD36
	v_mfma_f32_16x16x16_f16 v[124:127], a[56:57], v[88:89], v[124:127]// 000000008658: D3CD007C 0DF2B138
	v_mfma_f32_16x16x16_f16 v[124:127], a[58:59], v[90:91], v[124:127]// 000000008660: D3CD007C 0DF2B53A
	v_mfma_f32_16x16x16_f16 v[124:127], a[60:61], v[92:93], v[124:127]// 000000008668: D3CD007C 0DF2B93C
	v_mfma_f32_16x16x16_f16 v[124:127], a[62:63], v[94:95], v[124:127]// 000000008670: D3CD007C 0DF2BD3E
	s_cmp_le_i32 s90, s89                                      // 000000008678: BF05595A
	s_cbranch_scc1 label_1994                                  // 00000000867C: BF850073
	v_mov_b32_e32 v55, 0xff800000                              // 000000008680: 7E6E02FF FF800000
	s_mov_b32 s60, s90                                         // 000000008688: BEBC005A
	s_add_u32 s61, s89, 0xff                                   // 00000000868C: 803DFF59 000000FF
	v_mov_b32_e32 v39, s61                                     // 000000008694: 7E4E023D
	v_lshrrev_b32_e32 v31, 4, v0                               // 000000008698: 203E0084
	v_mul_i32_i24_e32 v31, 4, v31                              // 00000000869C: 0C3E3E84
	v_add_u32_e32 v31, s60, v31                                // 0000000086A0: 683E3E3C
	v_and_b32_e32 v40, 15, v0                                  // 0000000086A4: 2650008F
	v_lshrrev_b32_e32 v40, 3, v40                              // 0000000086A8: 20505083
	s_mov_b32 s61, 0                                           // 0000000086AC: BEBD0080
	s_mul_i32 s60, 16, s7                                      // 0000000086B0: 923C0790
	v_add_u32_e32 v40, s61, v40                                // 0000000086B4: 6850503D
	v_sub_u32_e32 v31, v31, v40                                // 0000000086B8: 6A3E511F
	v_add_u32_e32 v31, s60, v31                                // 0000000086BC: 683E3E3C
	v_add_u32_e32 v32, 1, v31                                  // 0000000086C0: 68403E81
	v_add_u32_e32 v33, 2, v31                                  // 0000000086C4: 68423E82
	v_add_u32_e32 v34, 3, v31                                  // 0000000086C8: 68443E83
	v_cmp_le_u32_e64 s[40:41], v31, v39                        // 0000000086CC: D0CB0028 00024F1F
	v_add_u32_e32 v31, 64, v31                                 // 0000000086D4: 683E3EC0
	s_nop 0                                                    // 0000000086D8: BF800000
	v_cndmask_b32_e64 v112, v55, v112, s[40:41]                // 0000000086DC: D1000070 00A2E137
	v_cmp_le_u32_e64 s[40:41], v32, v39                        // 0000000086E4: D0CB0028 00024F20
	v_add_u32_e32 v32, 64, v32                                 // 0000000086EC: 684040C0
	s_nop 0                                                    // 0000000086F0: BF800000
	v_cndmask_b32_e64 v113, v55, v113, s[40:41]                // 0000000086F4: D1000071 00A2E337
	v_cmp_le_u32_e64 s[40:41], v33, v39                        // 0000000086FC: D0CB0028 00024F21
	v_add_u32_e32 v33, 64, v33                                 // 000000008704: 684242C0
	s_nop 0                                                    // 000000008708: BF800000
	v_cndmask_b32_e64 v114, v55, v114, s[40:41]                // 00000000870C: D1000072 00A2E537
	v_cmp_le_u32_e64 s[40:41], v34, v39                        // 000000008714: D0CB0028 00024F22
	v_add_u32_e32 v34, 64, v34                                 // 00000000871C: 684444C0
	s_nop 0                                                    // 000000008720: BF800000
	v_cndmask_b32_e64 v115, v55, v115, s[40:41]                // 000000008724: D1000073 00A2E737
	v_cmp_le_u32_e64 s[40:41], v31, v39                        // 00000000872C: D0CB0028 00024F1F
	v_add_u32_e32 v31, 64, v31                                 // 000000008734: 683E3EC0
	s_nop 0                                                    // 000000008738: BF800000
	v_cndmask_b32_e64 v116, v55, v116, s[40:41]                // 00000000873C: D1000074 00A2E937
	v_cmp_le_u32_e64 s[40:41], v32, v39                        // 000000008744: D0CB0028 00024F20
	v_add_u32_e32 v32, 64, v32                                 // 00000000874C: 684040C0
	s_nop 0                                                    // 000000008750: BF800000
	v_cndmask_b32_e64 v117, v55, v117, s[40:41]                // 000000008754: D1000075 00A2EB37
	v_cmp_le_u32_e64 s[40:41], v33, v39                        // 00000000875C: D0CB0028 00024F21
	v_add_u32_e32 v33, 64, v33                                 // 000000008764: 684242C0
	s_nop 0                                                    // 000000008768: BF800000
	v_cndmask_b32_e64 v118, v55, v118, s[40:41]                // 00000000876C: D1000076 00A2ED37
	v_cmp_le_u32_e64 s[40:41], v34, v39                        // 000000008774: D0CB0028 00024F22
	v_add_u32_e32 v34, 64, v34                                 // 00000000877C: 684444C0
	s_nop 0                                                    // 000000008780: BF800000
	v_cndmask_b32_e64 v119, v55, v119, s[40:41]                // 000000008784: D1000077 00A2EF37
	v_cmp_le_u32_e64 s[40:41], v31, v39                        // 00000000878C: D0CB0028 00024F1F
	v_add_u32_e32 v31, 64, v31                                 // 000000008794: 683E3EC0
	s_nop 0                                                    // 000000008798: BF800000
	v_cndmask_b32_e64 v120, v55, v120, s[40:41]                // 00000000879C: D1000078 00A2F137
	v_cmp_le_u32_e64 s[40:41], v32, v39                        // 0000000087A4: D0CB0028 00024F20
	v_add_u32_e32 v32, 64, v32                                 // 0000000087AC: 684040C0
	s_nop 0                                                    // 0000000087B0: BF800000
	v_cndmask_b32_e64 v121, v55, v121, s[40:41]                // 0000000087B4: D1000079 00A2F337
	v_cmp_le_u32_e64 s[40:41], v33, v39                        // 0000000087BC: D0CB0028 00024F21
	v_add_u32_e32 v33, 64, v33                                 // 0000000087C4: 684242C0
	s_nop 0                                                    // 0000000087C8: BF800000
	v_cndmask_b32_e64 v122, v55, v122, s[40:41]                // 0000000087CC: D100007A 00A2F537
	v_cmp_le_u32_e64 s[40:41], v34, v39                        // 0000000087D4: D0CB0028 00024F22
	v_add_u32_e32 v34, 64, v34                                 // 0000000087DC: 684444C0
	s_nop 0                                                    // 0000000087E0: BF800000
	v_cndmask_b32_e64 v123, v55, v123, s[40:41]                // 0000000087E4: D100007B 00A2F737
	v_cmp_le_u32_e64 s[40:41], v31, v39                        // 0000000087EC: D0CB0028 00024F1F
	v_add_u32_e32 v31, 64, v31                                 // 0000000087F4: 683E3EC0
	s_nop 0                                                    // 0000000087F8: BF800000
	v_cndmask_b32_e64 v124, v55, v124, s[40:41]                // 0000000087FC: D100007C 00A2F937
	v_cmp_le_u32_e64 s[40:41], v32, v39                        // 000000008804: D0CB0028 00024F20
	v_add_u32_e32 v32, 64, v32                                 // 00000000880C: 684040C0
	s_nop 0                                                    // 000000008810: BF800000
	v_cndmask_b32_e64 v125, v55, v125, s[40:41]                // 000000008814: D100007D 00A2FB37
	v_cmp_le_u32_e64 s[40:41], v33, v39                        // 00000000881C: D0CB0028 00024F21
	v_add_u32_e32 v33, 64, v33                                 // 000000008824: 684242C0
	s_nop 0                                                    // 000000008828: BF800000
	v_cndmask_b32_e64 v126, v55, v126, s[40:41]                // 00000000882C: D100007E 00A2FD37
	v_cmp_le_u32_e64 s[40:41], v34, v39                        // 000000008834: D0CB0028 00024F22
	v_add_u32_e32 v34, 64, v34                                 // 00000000883C: 684444C0
	s_nop 0                                                    // 000000008840: BF800000
	v_cndmask_b32_e64 v127, v55, v127, s[40:41]                // 000000008844: D100007F 00A2FF37

000000000000884c <label_1994>:
	s_nop 8                                                    // 00000000884C: BF800008
	s_and_b32 s60, s72, 0xff                                   // 000000008850: 863CFF48 000000FF
	v_mov_b32_e32 v56, s60                                     // 000000008858: 7E70023C
	v_lshrrev_b32_e32 v31, 4, v0                               // 00000000885C: 203E0084
	v_mul_i32_i24_e32 v31, 4, v31                              // 000000008860: 0C3E3E84
	s_mul_i32 s60, s7, 16                                      // 000000008864: 923C9007
	v_add_u32_e32 v31, s60, v31                                // 000000008868: 683E3E3C
	v_add_u32_e32 v32, 1, v31                                  // 00000000886C: 68403E81
	v_add_u32_e32 v33, 2, v31                                  // 000000008870: 68423E82
	v_add_u32_e32 v34, 3, v31                                  // 000000008874: 68443E83
	v_mov_b32_e32 v39, v55                                     // 000000008878: 7E4E0337
	v_cmp_lt_u32_e64 s[40:41], v31, v56                        // 00000000887C: D0C90028 0002711F
	v_add_u32_e32 v31, 64, v31                                 // 000000008884: 683E3EC0
	s_nop 0                                                    // 000000008888: BF800000
	v_cndmask_b32_e64 v112, v39, v112, s[40:41]                // 00000000888C: D1000070 00A2E127
	v_cmp_lt_u32_e64 s[40:41], v32, v56                        // 000000008894: D0C90028 00027120
	v_add_u32_e32 v32, 64, v32                                 // 00000000889C: 684040C0
	s_nop 0                                                    // 0000000088A0: BF800000
	v_cndmask_b32_e64 v113, v39, v113, s[40:41]                // 0000000088A4: D1000071 00A2E327
	v_cmp_lt_u32_e64 s[40:41], v33, v56                        // 0000000088AC: D0C90028 00027121
	v_add_u32_e32 v33, 64, v33                                 // 0000000088B4: 684242C0
	s_nop 0                                                    // 0000000088B8: BF800000
	v_cndmask_b32_e64 v114, v39, v114, s[40:41]                // 0000000088BC: D1000072 00A2E527
	v_cmp_lt_u32_e64 s[40:41], v34, v56                        // 0000000088C4: D0C90028 00027122
	v_add_u32_e32 v34, 64, v34                                 // 0000000088CC: 684444C0
	s_nop 0                                                    // 0000000088D0: BF800000
	v_cndmask_b32_e64 v115, v39, v115, s[40:41]                // 0000000088D4: D1000073 00A2E727
	v_cmp_lt_u32_e64 s[40:41], v31, v56                        // 0000000088DC: D0C90028 0002711F
	v_add_u32_e32 v31, 64, v31                                 // 0000000088E4: 683E3EC0
	s_nop 0                                                    // 0000000088E8: BF800000
	v_cndmask_b32_e64 v116, v39, v116, s[40:41]                // 0000000088EC: D1000074 00A2E927
	v_cmp_lt_u32_e64 s[40:41], v32, v56                        // 0000000088F4: D0C90028 00027120
	v_add_u32_e32 v32, 64, v32                                 // 0000000088FC: 684040C0
	s_nop 0                                                    // 000000008900: BF800000
	v_cndmask_b32_e64 v117, v39, v117, s[40:41]                // 000000008904: D1000075 00A2EB27
	v_cmp_lt_u32_e64 s[40:41], v33, v56                        // 00000000890C: D0C90028 00027121
	v_add_u32_e32 v33, 64, v33                                 // 000000008914: 684242C0
	s_nop 0                                                    // 000000008918: BF800000
	v_cndmask_b32_e64 v118, v39, v118, s[40:41]                // 00000000891C: D1000076 00A2ED27
	v_cmp_lt_u32_e64 s[40:41], v34, v56                        // 000000008924: D0C90028 00027122
	v_add_u32_e32 v34, 64, v34                                 // 00000000892C: 684444C0
	s_nop 0                                                    // 000000008930: BF800000
	v_cndmask_b32_e64 v119, v39, v119, s[40:41]                // 000000008934: D1000077 00A2EF27
	v_cmp_lt_u32_e64 s[40:41], v31, v56                        // 00000000893C: D0C90028 0002711F
	v_add_u32_e32 v31, 64, v31                                 // 000000008944: 683E3EC0
	s_nop 0                                                    // 000000008948: BF800000
	v_cndmask_b32_e64 v120, v39, v120, s[40:41]                // 00000000894C: D1000078 00A2F127
	v_cmp_lt_u32_e64 s[40:41], v32, v56                        // 000000008954: D0C90028 00027120
	v_add_u32_e32 v32, 64, v32                                 // 00000000895C: 684040C0
	s_nop 0                                                    // 000000008960: BF800000
	v_cndmask_b32_e64 v121, v39, v121, s[40:41]                // 000000008964: D1000079 00A2F327
	v_cmp_lt_u32_e64 s[40:41], v33, v56                        // 00000000896C: D0C90028 00027121
	v_add_u32_e32 v33, 64, v33                                 // 000000008974: 684242C0
	s_nop 0                                                    // 000000008978: BF800000
	v_cndmask_b32_e64 v122, v39, v122, s[40:41]                // 00000000897C: D100007A 00A2F527
	v_cmp_lt_u32_e64 s[40:41], v34, v56                        // 000000008984: D0C90028 00027122
	v_add_u32_e32 v34, 64, v34                                 // 00000000898C: 684444C0
	s_nop 0                                                    // 000000008990: BF800000
	v_cndmask_b32_e64 v123, v39, v123, s[40:41]                // 000000008994: D100007B 00A2F727
	v_cmp_lt_u32_e64 s[40:41], v31, v56                        // 00000000899C: D0C90028 0002711F
	v_add_u32_e32 v31, 64, v31                                 // 0000000089A4: 683E3EC0
	s_nop 0                                                    // 0000000089A8: BF800000
	v_cndmask_b32_e64 v124, v39, v124, s[40:41]                // 0000000089AC: D100007C 00A2F927
	v_cmp_lt_u32_e64 s[40:41], v32, v56                        // 0000000089B4: D0C90028 00027120
	v_add_u32_e32 v32, 64, v32                                 // 0000000089BC: 684040C0
	s_nop 0                                                    // 0000000089C0: BF800000
	v_cndmask_b32_e64 v125, v39, v125, s[40:41]                // 0000000089C4: D100007D 00A2FB27
	v_cmp_lt_u32_e64 s[40:41], v33, v56                        // 0000000089CC: D0C90028 00027121
	v_add_u32_e32 v33, 64, v33                                 // 0000000089D4: 684242C0
	s_nop 0                                                    // 0000000089D8: BF800000
	v_cndmask_b32_e64 v126, v39, v126, s[40:41]                // 0000000089DC: D100007E 00A2FD27
	v_cmp_lt_u32_e64 s[40:41], v34, v56                        // 0000000089E4: D0C90028 00027122
	v_add_u32_e32 v34, 64, v34                                 // 0000000089EC: 684444C0
	s_nop 0                                                    // 0000000089F0: BF800000
	v_cndmask_b32_e64 v127, v39, v127, s[40:41]                // 0000000089F4: D100007F 00A2FF27
	s_nop 8                                                    // 0000000089FC: BF800008
	v_mov_b32_e32 v50, v112                                    // 000000008A00: 7E640370
	v_max3_f32 v50, v112, v113, v50                            // 000000008A04: D1D30032 04CAE370
	v_max3_f32 v50, v114, v115, v50                            // 000000008A0C: D1D30032 04CAE772
	v_max3_f32 v50, v116, v117, v50                            // 000000008A14: D1D30032 04CAEB74
	v_max3_f32 v50, v118, v119, v50                            // 000000008A1C: D1D30032 04CAEF76
	v_max3_f32 v50, v120, v121, v50                            // 000000008A24: D1D30032 04CAF378
	v_max3_f32 v50, v122, v123, v50                            // 000000008A2C: D1D30032 04CAF77A
	v_max3_f32 v50, v124, v125, v50                            // 000000008A34: D1D30032 04CAFB7C
	v_max3_f32 v50, v126, v127, v50                            // 000000008A3C: D1D30032 04CAFF7E
	ds_write_b32 v11, v50                                      // 000000008A44: D81A0000 0000320B
	s_waitcnt lgkmcnt(0)                                       // 000000008A4C: BF8CC07F
	s_barrier                                                  // 000000008A50: BF8A0000
	ds_read_b32 v64, v10                                       // 000000008A54: D86C0000 4000000A
	ds_read_b32 v65, v10 offset:64                             // 000000008A5C: D86C0040 4100000A
	ds_read_b32 v66, v10 offset:128                            // 000000008A64: D86C0080 4200000A
	ds_read_b32 v67, v10 offset:192                            // 000000008A6C: D86C00C0 4300000A
	ds_read_b32 v68, v10 offset:256                            // 000000008A74: D86C0100 4400000A
	ds_read_b32 v69, v10 offset:320                            // 000000008A7C: D86C0140 4500000A
	ds_read_b32 v70, v10 offset:384                            // 000000008A84: D86C0180 4600000A
	ds_read_b32 v71, v10 offset:448                            // 000000008A8C: D86C01C0 4700000A
	ds_read_b32 v72, v10 offset:512                            // 000000008A94: D86C0200 4800000A
	ds_read_b32 v73, v10 offset:576                            // 000000008A9C: D86C0240 4900000A
	ds_read_b32 v74, v10 offset:640                            // 000000008AA4: D86C0280 4A00000A
	ds_read_b32 v75, v10 offset:704                            // 000000008AAC: D86C02C0 4B00000A
	ds_read_b32 v76, v10 offset:768                            // 000000008AB4: D86C0300 4C00000A
	ds_read_b32 v77, v10 offset:832                            // 000000008ABC: D86C0340 4D00000A
	ds_read_b32 v78, v10 offset:896                            // 000000008AC4: D86C0380 4E00000A
	ds_read_b32 v79, v10 offset:960                            // 000000008ACC: D86C03C0 4F00000A
	s_waitcnt lgkmcnt(0)                                       // 000000008AD4: BF8CC07F
	v_max3_f32 v50, v64, v65, v50                              // 000000008AD8: D1D30032 04CA8340
	v_max3_f32 v50, v66, v67, v50                              // 000000008AE0: D1D30032 04CA8742
	v_max3_f32 v50, v68, v69, v50                              // 000000008AE8: D1D30032 04CA8B44
	v_max3_f32 v50, v70, v71, v50                              // 000000008AF0: D1D30032 04CA8F46
	v_max3_f32 v50, v72, v73, v50                              // 000000008AF8: D1D30032 04CA9348
	v_max3_f32 v50, v74, v75, v50                              // 000000008B00: D1D30032 04CA974A
	v_max3_f32 v50, v76, v77, v50                              // 000000008B08: D1D30032 04CA9B4C
	v_max3_f32 v50, v78, v79, v50                              // 000000008B10: D1D30032 04CA9F4E
	v_cmp_eq_u32_e64 s[40:41], v55, v14                        // 000000008B18: D0CA0028 00021D37
	s_nop 1                                                    // 000000008B20: BF800001
	v_max_f32_e32 v16, v50, v14                                // 000000008B24: 16201D32
	v_sub_f32_e32 v51, v14, v16                                // 000000008B28: 0466210E
	v_cndmask_b32_e64 v51, v51, 0, s[40:41]                    // 000000008B2C: D1000033 00A10133
	v_mov_b32_e32 v14, v16                                     // 000000008B34: 7E1C0310
	v_mul_f32_e32 v53, s64, v16                                // 000000008B38: 0A6A2040
	v_mul_f32_e32 v51, s64, v51                                // 000000008B3C: 0A666640
	v_exp_f32_e32 v51, v51                                     // 000000008B40: 7E664133
	v_fma_f32 v112, v112, s64, -v53                            // 000000008B44: D1CB0070 84D48170
	v_fma_f32 v113, v113, s64, -v53                            // 000000008B4C: D1CB0071 84D48171
	v_fma_f32 v114, v114, s64, -v53                            // 000000008B54: D1CB0072 84D48172
	v_fma_f32 v115, v115, s64, -v53                            // 000000008B5C: D1CB0073 84D48173
	v_fma_f32 v116, v116, s64, -v53                            // 000000008B64: D1CB0074 84D48174
	v_fma_f32 v117, v117, s64, -v53                            // 000000008B6C: D1CB0075 84D48175
	v_fma_f32 v118, v118, s64, -v53                            // 000000008B74: D1CB0076 84D48176
	v_fma_f32 v119, v119, s64, -v53                            // 000000008B7C: D1CB0077 84D48177
	v_fma_f32 v120, v120, s64, -v53                            // 000000008B84: D1CB0078 84D48178
	v_fma_f32 v121, v121, s64, -v53                            // 000000008B8C: D1CB0079 84D48179
	v_fma_f32 v122, v122, s64, -v53                            // 000000008B94: D1CB007A 84D4817A
	v_fma_f32 v123, v123, s64, -v53                            // 000000008B9C: D1CB007B 84D4817B
	v_fma_f32 v124, v124, s64, -v53                            // 000000008BA4: D1CB007C 84D4817C
	v_fma_f32 v125, v125, s64, -v53                            // 000000008BAC: D1CB007D 84D4817D
	v_fma_f32 v126, v126, s64, -v53                            // 000000008BB4: D1CB007E 84D4817E
	v_fma_f32 v127, v127, s64, -v53                            // 000000008BBC: D1CB007F 84D4817F
	v_exp_f32_e32 v112, v112                                   // 000000008BC4: 7EE04170
	v_exp_f32_e32 v113, v113                                   // 000000008BC8: 7EE24171
	v_exp_f32_e32 v114, v114                                   // 000000008BCC: 7EE44172
	v_exp_f32_e32 v115, v115                                   // 000000008BD0: 7EE64173
	v_exp_f32_e32 v116, v116                                   // 000000008BD4: 7EE84174
	v_exp_f32_e32 v117, v117                                   // 000000008BD8: 7EEA4175
	v_exp_f32_e32 v118, v118                                   // 000000008BDC: 7EEC4176
	v_exp_f32_e32 v119, v119                                   // 000000008BE0: 7EEE4177
	v_exp_f32_e32 v120, v120                                   // 000000008BE4: 7EF04178
	v_exp_f32_e32 v121, v121                                   // 000000008BE8: 7EF24179
	v_exp_f32_e32 v122, v122                                   // 000000008BEC: 7EF4417A
	v_exp_f32_e32 v123, v123                                   // 000000008BF0: 7EF6417B
	v_exp_f32_e32 v124, v124                                   // 000000008BF4: 7EF8417C
	v_exp_f32_e32 v125, v125                                   // 000000008BF8: 7EFA417D
	v_exp_f32_e32 v126, v126                                   // 000000008BFC: 7EFC417E
	v_exp_f32_e32 v127, v127                                   // 000000008C00: 7EFE417F
	v_mul_f32_e32 v43, v51, v43                                // 000000008C04: 0A565733
	v_mov_b32_e32 v45, v112                                    // 000000008C08: 7E5A0370
	v_add_f32_e32 v45, v113, v45                               // 000000008C0C: 025A5B71
	v_add_f32_e32 v45, v114, v45                               // 000000008C10: 025A5B72
	v_add_f32_e32 v45, v115, v45                               // 000000008C14: 025A5B73
	v_add_f32_e32 v45, v116, v45                               // 000000008C18: 025A5B74
	v_add_f32_e32 v45, v117, v45                               // 000000008C1C: 025A5B75
	v_add_f32_e32 v45, v118, v45                               // 000000008C20: 025A5B76
	v_add_f32_e32 v45, v119, v45                               // 000000008C24: 025A5B77
	v_add_f32_e32 v45, v120, v45                               // 000000008C28: 025A5B78
	v_add_f32_e32 v45, v121, v45                               // 000000008C2C: 025A5B79
	v_add_f32_e32 v45, v122, v45                               // 000000008C30: 025A5B7A
	v_add_f32_e32 v45, v123, v45                               // 000000008C34: 025A5B7B
	v_add_f32_e32 v45, v124, v45                               // 000000008C38: 025A5B7C
	v_add_f32_e32 v45, v125, v45                               // 000000008C3C: 025A5B7D
	v_add_f32_e32 v45, v126, v45                               // 000000008C40: 025A5B7E
	v_add_f32_e32 v45, v127, v45                               // 000000008C44: 025A5B7F
	v_add_f32_e32 v43, v45, v43                                // 000000008C48: 0256572D
	v_cvt_pkrtz_f16_f32 v39, v112, v113                        // 000000008C4C: D2960027 0002E370
	v_mov_b32_e32 v112, v39                                    // 000000008C54: 7EE00327
	v_cvt_pkrtz_f16_f32 v39, v114, v115                        // 000000008C58: D2960027 0002E772
	v_mov_b32_e32 v113, v39                                    // 000000008C60: 7EE20327
	v_cvt_pkrtz_f16_f32 v39, v116, v117                        // 000000008C64: D2960027 0002EB74
	v_mov_b32_e32 v114, v39                                    // 000000008C6C: 7EE40327
	v_cvt_pkrtz_f16_f32 v39, v118, v119                        // 000000008C70: D2960027 0002EF76
	v_mov_b32_e32 v115, v39                                    // 000000008C78: 7EE60327
	v_cvt_pkrtz_f16_f32 v39, v120, v121                        // 000000008C7C: D2960027 0002F378
	v_mov_b32_e32 v116, v39                                    // 000000008C84: 7EE80327
	v_cvt_pkrtz_f16_f32 v39, v122, v123                        // 000000008C88: D2960027 0002F77A
	v_mov_b32_e32 v117, v39                                    // 000000008C90: 7EEA0327
	v_cvt_pkrtz_f16_f32 v39, v124, v125                        // 000000008C94: D2960027 0002FB7C
	v_mov_b32_e32 v118, v39                                    // 000000008C9C: 7EEC0327
	v_cvt_pkrtz_f16_f32 v39, v126, v127                        // 000000008CA0: D2960027 0002FF7E
	v_mov_b32_e32 v119, v39                                    // 000000008CA8: 7EEE0327
	ds_write_b64 v13, v[112:113] offset:4096                   // 000000008CAC: D89A1000 0000700D
	ds_write_b64 v13, v[114:115] offset:6144                   // 000000008CB4: D89A1800 0000720D
	ds_write_b64 v13, v[116:117] offset:8192                   // 000000008CBC: D89A2000 0000740D
	ds_write_b64 v13, v[118:119] offset:10240                  // 000000008CC4: D89A2800 0000760D
	s_waitcnt lgkmcnt(0)                                       // 000000008CCC: BF8CC07F
	s_barrier                                                  // 000000008CD0: BF8A0000
	ds_read_b64 v[112:113], v12 offset:4096                    // 000000008CD4: D8EC1000 7000000C
	ds_read_b64 v[114:115], v12 offset:4224                    // 000000008CDC: D8EC1080 7200000C
	ds_read_b64 v[116:117], v12 offset:5120                    // 000000008CE4: D8EC1400 7400000C
	ds_read_b64 v[118:119], v12 offset:5248                    // 000000008CEC: D8EC1480 7600000C
	ds_read_b64 v[120:121], v12 offset:6144                    // 000000008CF4: D8EC1800 7800000C
	ds_read_b64 v[122:123], v12 offset:6272                    // 000000008CFC: D8EC1880 7A00000C
	ds_read_b64 v[124:125], v12 offset:7168                    // 000000008D04: D8EC1C00 7C00000C
	ds_read_b64 v[126:127], v12 offset:7296                    // 000000008D0C: D8EC1C80 7E00000C
	ds_read_b64 v[128:129], v12 offset:8192                    // 000000008D14: D8EC2000 8000000C
	ds_read_b64 v[130:131], v12 offset:8320                    // 000000008D1C: D8EC2080 8200000C
	ds_read_b64 v[132:133], v12 offset:9216                    // 000000008D24: D8EC2400 8400000C
	ds_read_b64 v[134:135], v12 offset:9344                    // 000000008D2C: D8EC2480 8600000C
	ds_read_b64 v[136:137], v12 offset:10240                   // 000000008D34: D8EC2800 8800000C
	ds_read_b64 v[138:139], v12 offset:10368                   // 000000008D3C: D8EC2880 8A00000C
	ds_read_b64 v[140:141], v12 offset:11264                   // 000000008D44: D8EC2C00 8C00000C
	ds_read_b64 v[142:143], v12 offset:11392                   // 000000008D4C: D8EC2C80 8E00000C
	s_waitcnt lgkmcnt(0)                                       // 000000008D54: BF8CC07F
	v_mul_f32_e32 v176, v51, v176                              // 000000008D58: 0B616133
	v_mul_f32_e32 v177, v51, v177                              // 000000008D5C: 0B636333
	v_mul_f32_e32 v178, v51, v178                              // 000000008D60: 0B656533
	v_mul_f32_e32 v179, v51, v179                              // 000000008D64: 0B676733
	v_mul_f32_e32 v180, v51, v180                              // 000000008D68: 0B696933
	v_mul_f32_e32 v181, v51, v181                              // 000000008D6C: 0B6B6B33
	v_mul_f32_e32 v182, v51, v182                              // 000000008D70: 0B6D6D33
	v_mul_f32_e32 v183, v51, v183                              // 000000008D74: 0B6F6F33
	s_waitcnt vmcnt(0)                                         // 000000008D78: BF8C0F70
	s_barrier                                                  // 000000008D7C: BF8A0000
	v_mfma_f32_16x16x16_f16 v[176:179], a[128:129], v[112:113], v[176:179]// 000000008D80: D3CD00B0 0EC2E180
	v_mfma_f32_16x16x16_f16 v[176:179], a[130:131], v[114:115], v[176:179]// 000000008D88: D3CD00B0 0EC2E582
	v_mfma_f32_16x16x16_f16 v[176:179], a[132:133], v[116:117], v[176:179]// 000000008D90: D3CD00B0 0EC2E984
	v_mfma_f32_16x16x16_f16 v[176:179], a[134:135], v[118:119], v[176:179]// 000000008D98: D3CD00B0 0EC2ED86
	v_mfma_f32_16x16x16_f16 v[176:179], a[136:137], v[120:121], v[176:179]// 000000008DA0: D3CD00B0 0EC2F188
	v_mfma_f32_16x16x16_f16 v[176:179], a[138:139], v[122:123], v[176:179]// 000000008DA8: D3CD00B0 0EC2F58A
	v_mfma_f32_16x16x16_f16 v[176:179], a[140:141], v[124:125], v[176:179]// 000000008DB0: D3CD00B0 0EC2F98C
	v_mfma_f32_16x16x16_f16 v[176:179], a[142:143], v[126:127], v[176:179]// 000000008DB8: D3CD00B0 0EC2FD8E
	v_mfma_f32_16x16x16_f16 v[176:179], a[144:145], v[128:129], v[176:179]// 000000008DC0: D3CD00B0 0EC30190
	v_mfma_f32_16x16x16_f16 v[176:179], a[146:147], v[130:131], v[176:179]// 000000008DC8: D3CD00B0 0EC30592
	v_mfma_f32_16x16x16_f16 v[176:179], a[148:149], v[132:133], v[176:179]// 000000008DD0: D3CD00B0 0EC30994
	v_mfma_f32_16x16x16_f16 v[176:179], a[150:151], v[134:135], v[176:179]// 000000008DD8: D3CD00B0 0EC30D96
	v_mfma_f32_16x16x16_f16 v[176:179], a[152:153], v[136:137], v[176:179]// 000000008DE0: D3CD00B0 0EC31198
	v_mfma_f32_16x16x16_f16 v[176:179], a[154:155], v[138:139], v[176:179]// 000000008DE8: D3CD00B0 0EC3159A
	v_mfma_f32_16x16x16_f16 v[176:179], a[156:157], v[140:141], v[176:179]// 000000008DF0: D3CD00B0 0EC3199C
	v_mfma_f32_16x16x16_f16 v[176:179], a[158:159], v[142:143], v[176:179]// 000000008DF8: D3CD00B0 0EC31D9E
	v_mfma_f32_16x16x16_f16 v[180:183], a[160:161], v[112:113], v[180:183]// 000000008E00: D3CD00B4 0ED2E1A0
	v_mfma_f32_16x16x16_f16 v[180:183], a[162:163], v[114:115], v[180:183]// 000000008E08: D3CD00B4 0ED2E5A2
	v_mfma_f32_16x16x16_f16 v[180:183], a[164:165], v[116:117], v[180:183]// 000000008E10: D3CD00B4 0ED2E9A4
	v_mfma_f32_16x16x16_f16 v[180:183], a[166:167], v[118:119], v[180:183]// 000000008E18: D3CD00B4 0ED2EDA6
	v_mfma_f32_16x16x16_f16 v[180:183], a[168:169], v[120:121], v[180:183]// 000000008E20: D3CD00B4 0ED2F1A8
	v_mfma_f32_16x16x16_f16 v[180:183], a[170:171], v[122:123], v[180:183]// 000000008E28: D3CD00B4 0ED2F5AA
	v_mfma_f32_16x16x16_f16 v[180:183], a[172:173], v[124:125], v[180:183]// 000000008E30: D3CD00B4 0ED2F9AC
	v_mfma_f32_16x16x16_f16 v[180:183], a[174:175], v[126:127], v[180:183]// 000000008E38: D3CD00B4 0ED2FDAE
	v_mfma_f32_16x16x16_f16 v[180:183], a[176:177], v[128:129], v[180:183]// 000000008E40: D3CD00B4 0ED301B0
	v_mfma_f32_16x16x16_f16 v[180:183], a[178:179], v[130:131], v[180:183]// 000000008E48: D3CD00B4 0ED305B2
	v_mfma_f32_16x16x16_f16 v[180:183], a[180:181], v[132:133], v[180:183]// 000000008E50: D3CD00B4 0ED309B4
	v_mfma_f32_16x16x16_f16 v[180:183], a[182:183], v[134:135], v[180:183]// 000000008E58: D3CD00B4 0ED30DB6
	v_mfma_f32_16x16x16_f16 v[180:183], a[184:185], v[136:137], v[180:183]// 000000008E60: D3CD00B4 0ED311B8
	v_mfma_f32_16x16x16_f16 v[180:183], a[186:187], v[138:139], v[180:183]// 000000008E68: D3CD00B4 0ED315BA
	v_mfma_f32_16x16x16_f16 v[180:183], a[188:189], v[140:141], v[180:183]// 000000008E70: D3CD00B4 0ED319BC
	v_mfma_f32_16x16x16_f16 v[180:183], a[190:191], v[142:143], v[180:183]// 000000008E78: D3CD00B4 0ED31DBE
	s_nop 8                                                    // 000000008E80: BF800008
	s_branch label_1D69                                        // 000000008E84: BF820246

0000000000008e88 <label_1B23>:
	s_waitcnt vmcnt(16) lgkmcnt(0)                             // 000000008E88: BF8C4070
	s_barrier                                                  // 000000008E8C: BF8A0000
	v_mfma_f32_16x16x16_f16 v[112:115], a[64:65], v[80:81], 0  // 000000008E90: D3CD0070 0A02A140
	v_mfma_f32_16x16x16_f16 v[112:115], a[66:67], v[82:83], v[112:115]// 000000008E98: D3CD0070 0DC2A542
	v_mfma_f32_16x16x16_f16 v[112:115], a[68:69], v[84:85], v[112:115]// 000000008EA0: D3CD0070 0DC2A944
	v_mfma_f32_16x16x16_f16 v[112:115], a[70:71], v[86:87], v[112:115]// 000000008EA8: D3CD0070 0DC2AD46
	v_mfma_f32_16x16x16_f16 v[112:115], a[72:73], v[88:89], v[112:115]// 000000008EB0: D3CD0070 0DC2B148
	v_mfma_f32_16x16x16_f16 v[112:115], a[74:75], v[90:91], v[112:115]// 000000008EB8: D3CD0070 0DC2B54A
	v_mfma_f32_16x16x16_f16 v[112:115], a[76:77], v[92:93], v[112:115]// 000000008EC0: D3CD0070 0DC2B94C
	v_mfma_f32_16x16x16_f16 v[112:115], a[78:79], v[94:95], v[112:115]// 000000008EC8: D3CD0070 0DC2BD4E
	v_mfma_f32_16x16x16_f16 v[116:119], a[80:81], v[80:81], 0  // 000000008ED0: D3CD0074 0A02A150
	v_mfma_f32_16x16x16_f16 v[116:119], a[82:83], v[82:83], v[116:119]// 000000008ED8: D3CD0074 0DD2A552
	v_mfma_f32_16x16x16_f16 v[116:119], a[84:85], v[84:85], v[116:119]// 000000008EE0: D3CD0074 0DD2A954
	v_mfma_f32_16x16x16_f16 v[116:119], a[86:87], v[86:87], v[116:119]// 000000008EE8: D3CD0074 0DD2AD56
	v_mfma_f32_16x16x16_f16 v[116:119], a[88:89], v[88:89], v[116:119]// 000000008EF0: D3CD0074 0DD2B158
	v_mfma_f32_16x16x16_f16 v[116:119], a[90:91], v[90:91], v[116:119]// 000000008EF8: D3CD0074 0DD2B55A
	v_mfma_f32_16x16x16_f16 v[116:119], a[92:93], v[92:93], v[116:119]// 000000008F00: D3CD0074 0DD2B95C
	v_mfma_f32_16x16x16_f16 v[116:119], a[94:95], v[94:95], v[116:119]// 000000008F08: D3CD0074 0DD2BD5E
	v_mfma_f32_16x16x16_f16 v[120:123], a[96:97], v[80:81], 0  // 000000008F10: D3CD0078 0A02A160
	v_mfma_f32_16x16x16_f16 v[120:123], a[98:99], v[82:83], v[120:123]// 000000008F18: D3CD0078 0DE2A562
	v_mfma_f32_16x16x16_f16 v[120:123], a[100:101], v[84:85], v[120:123]// 000000008F20: D3CD0078 0DE2A964
	v_mfma_f32_16x16x16_f16 v[120:123], a[102:103], v[86:87], v[120:123]// 000000008F28: D3CD0078 0DE2AD66
	v_mfma_f32_16x16x16_f16 v[120:123], a[104:105], v[88:89], v[120:123]// 000000008F30: D3CD0078 0DE2B168
	v_mfma_f32_16x16x16_f16 v[120:123], a[106:107], v[90:91], v[120:123]// 000000008F38: D3CD0078 0DE2B56A
	v_mfma_f32_16x16x16_f16 v[120:123], a[108:109], v[92:93], v[120:123]// 000000008F40: D3CD0078 0DE2B96C
	v_mfma_f32_16x16x16_f16 v[120:123], a[110:111], v[94:95], v[120:123]// 000000008F48: D3CD0078 0DE2BD6E
	v_mfma_f32_16x16x16_f16 v[124:127], a[112:113], v[80:81], 0// 000000008F50: D3CD007C 0A02A170
	v_mfma_f32_16x16x16_f16 v[124:127], a[114:115], v[82:83], v[124:127]// 000000008F58: D3CD007C 0DF2A572
	v_mfma_f32_16x16x16_f16 v[124:127], a[116:117], v[84:85], v[124:127]// 000000008F60: D3CD007C 0DF2A974
	v_mfma_f32_16x16x16_f16 v[124:127], a[118:119], v[86:87], v[124:127]// 000000008F68: D3CD007C 0DF2AD76
	v_mfma_f32_16x16x16_f16 v[124:127], a[120:121], v[88:89], v[124:127]// 000000008F70: D3CD007C 0DF2B178
	v_mfma_f32_16x16x16_f16 v[124:127], a[122:123], v[90:91], v[124:127]// 000000008F78: D3CD007C 0DF2B57A
	v_mfma_f32_16x16x16_f16 v[124:127], a[124:125], v[92:93], v[124:127]// 000000008F80: D3CD007C 0DF2B97C
	v_mfma_f32_16x16x16_f16 v[124:127], a[126:127], v[94:95], v[124:127]// 000000008F88: D3CD007C 0DF2BD7E
	s_cmp_le_i32 s90, s89                                      // 000000008F90: BF05595A
	s_cbranch_scc1 label_1BDA                                  // 000000008F94: BF850073
	v_mov_b32_e32 v55, 0xff800000                              // 000000008F98: 7E6E02FF FF800000
	s_mov_b32 s60, s90                                         // 000000008FA0: BEBC005A
	s_add_u32 s61, s89, 0xff                                   // 000000008FA4: 803DFF59 000000FF
	v_mov_b32_e32 v39, s61                                     // 000000008FAC: 7E4E023D
	v_lshrrev_b32_e32 v31, 4, v0                               // 000000008FB0: 203E0084
	v_mul_i32_i24_e32 v31, 4, v31                              // 000000008FB4: 0C3E3E84
	v_add_u32_e32 v31, s60, v31                                // 000000008FB8: 683E3E3C
	v_and_b32_e32 v40, 15, v0                                  // 000000008FBC: 2650008F
	v_lshrrev_b32_e32 v40, 3, v40                              // 000000008FC0: 20505083
	s_mov_b32 s61, 0                                           // 000000008FC4: BEBD0080
	s_mul_i32 s60, 16, s7                                      // 000000008FC8: 923C0790
	v_add_u32_e32 v40, s61, v40                                // 000000008FCC: 6850503D
	v_sub_u32_e32 v31, v31, v40                                // 000000008FD0: 6A3E511F
	v_add_u32_e32 v31, s60, v31                                // 000000008FD4: 683E3E3C
	v_add_u32_e32 v32, 1, v31                                  // 000000008FD8: 68403E81
	v_add_u32_e32 v33, 2, v31                                  // 000000008FDC: 68423E82
	v_add_u32_e32 v34, 3, v31                                  // 000000008FE0: 68443E83
	v_cmp_le_u32_e64 s[40:41], v31, v39                        // 000000008FE4: D0CB0028 00024F1F
	v_add_u32_e32 v31, 64, v31                                 // 000000008FEC: 683E3EC0
	s_nop 0                                                    // 000000008FF0: BF800000
	v_cndmask_b32_e64 v112, v55, v112, s[40:41]                // 000000008FF4: D1000070 00A2E137
	v_cmp_le_u32_e64 s[40:41], v32, v39                        // 000000008FFC: D0CB0028 00024F20
	v_add_u32_e32 v32, 64, v32                                 // 000000009004: 684040C0
	s_nop 0                                                    // 000000009008: BF800000
	v_cndmask_b32_e64 v113, v55, v113, s[40:41]                // 00000000900C: D1000071 00A2E337
	v_cmp_le_u32_e64 s[40:41], v33, v39                        // 000000009014: D0CB0028 00024F21
	v_add_u32_e32 v33, 64, v33                                 // 00000000901C: 684242C0
	s_nop 0                                                    // 000000009020: BF800000
	v_cndmask_b32_e64 v114, v55, v114, s[40:41]                // 000000009024: D1000072 00A2E537
	v_cmp_le_u32_e64 s[40:41], v34, v39                        // 00000000902C: D0CB0028 00024F22
	v_add_u32_e32 v34, 64, v34                                 // 000000009034: 684444C0
	s_nop 0                                                    // 000000009038: BF800000
	v_cndmask_b32_e64 v115, v55, v115, s[40:41]                // 00000000903C: D1000073 00A2E737
	v_cmp_le_u32_e64 s[40:41], v31, v39                        // 000000009044: D0CB0028 00024F1F
	v_add_u32_e32 v31, 64, v31                                 // 00000000904C: 683E3EC0
	s_nop 0                                                    // 000000009050: BF800000
	v_cndmask_b32_e64 v116, v55, v116, s[40:41]                // 000000009054: D1000074 00A2E937
	v_cmp_le_u32_e64 s[40:41], v32, v39                        // 00000000905C: D0CB0028 00024F20
	v_add_u32_e32 v32, 64, v32                                 // 000000009064: 684040C0
	s_nop 0                                                    // 000000009068: BF800000
	v_cndmask_b32_e64 v117, v55, v117, s[40:41]                // 00000000906C: D1000075 00A2EB37
	v_cmp_le_u32_e64 s[40:41], v33, v39                        // 000000009074: D0CB0028 00024F21
	v_add_u32_e32 v33, 64, v33                                 // 00000000907C: 684242C0
	s_nop 0                                                    // 000000009080: BF800000
	v_cndmask_b32_e64 v118, v55, v118, s[40:41]                // 000000009084: D1000076 00A2ED37
	v_cmp_le_u32_e64 s[40:41], v34, v39                        // 00000000908C: D0CB0028 00024F22
	v_add_u32_e32 v34, 64, v34                                 // 000000009094: 684444C0
	s_nop 0                                                    // 000000009098: BF800000
	v_cndmask_b32_e64 v119, v55, v119, s[40:41]                // 00000000909C: D1000077 00A2EF37
	v_cmp_le_u32_e64 s[40:41], v31, v39                        // 0000000090A4: D0CB0028 00024F1F
	v_add_u32_e32 v31, 64, v31                                 // 0000000090AC: 683E3EC0
	s_nop 0                                                    // 0000000090B0: BF800000
	v_cndmask_b32_e64 v120, v55, v120, s[40:41]                // 0000000090B4: D1000078 00A2F137
	v_cmp_le_u32_e64 s[40:41], v32, v39                        // 0000000090BC: D0CB0028 00024F20
	v_add_u32_e32 v32, 64, v32                                 // 0000000090C4: 684040C0
	s_nop 0                                                    // 0000000090C8: BF800000
	v_cndmask_b32_e64 v121, v55, v121, s[40:41]                // 0000000090CC: D1000079 00A2F337
	v_cmp_le_u32_e64 s[40:41], v33, v39                        // 0000000090D4: D0CB0028 00024F21
	v_add_u32_e32 v33, 64, v33                                 // 0000000090DC: 684242C0
	s_nop 0                                                    // 0000000090E0: BF800000
	v_cndmask_b32_e64 v122, v55, v122, s[40:41]                // 0000000090E4: D100007A 00A2F537
	v_cmp_le_u32_e64 s[40:41], v34, v39                        // 0000000090EC: D0CB0028 00024F22
	v_add_u32_e32 v34, 64, v34                                 // 0000000090F4: 684444C0
	s_nop 0                                                    // 0000000090F8: BF800000
	v_cndmask_b32_e64 v123, v55, v123, s[40:41]                // 0000000090FC: D100007B 00A2F737
	v_cmp_le_u32_e64 s[40:41], v31, v39                        // 000000009104: D0CB0028 00024F1F
	v_add_u32_e32 v31, 64, v31                                 // 00000000910C: 683E3EC0
	s_nop 0                                                    // 000000009110: BF800000
	v_cndmask_b32_e64 v124, v55, v124, s[40:41]                // 000000009114: D100007C 00A2F937
	v_cmp_le_u32_e64 s[40:41], v32, v39                        // 00000000911C: D0CB0028 00024F20
	v_add_u32_e32 v32, 64, v32                                 // 000000009124: 684040C0
	s_nop 0                                                    // 000000009128: BF800000
	v_cndmask_b32_e64 v125, v55, v125, s[40:41]                // 00000000912C: D100007D 00A2FB37
	v_cmp_le_u32_e64 s[40:41], v33, v39                        // 000000009134: D0CB0028 00024F21
	v_add_u32_e32 v33, 64, v33                                 // 00000000913C: 684242C0
	s_nop 0                                                    // 000000009140: BF800000
	v_cndmask_b32_e64 v126, v55, v126, s[40:41]                // 000000009144: D100007E 00A2FD37
	v_cmp_le_u32_e64 s[40:41], v34, v39                        // 00000000914C: D0CB0028 00024F22
	v_add_u32_e32 v34, 64, v34                                 // 000000009154: 684444C0
	s_nop 0                                                    // 000000009158: BF800000
	v_cndmask_b32_e64 v127, v55, v127, s[40:41]                // 00000000915C: D100007F 00A2FF37

0000000000009164 <label_1BDA>:
	s_nop 8                                                    // 000000009164: BF800008
	s_and_b32 s60, s72, 0xff                                   // 000000009168: 863CFF48 000000FF
	v_mov_b32_e32 v56, s60                                     // 000000009170: 7E70023C
	v_lshrrev_b32_e32 v31, 4, v0                               // 000000009174: 203E0084
	v_mul_i32_i24_e32 v31, 4, v31                              // 000000009178: 0C3E3E84
	s_mul_i32 s60, s7, 16                                      // 00000000917C: 923C9007
	v_add_u32_e32 v31, s60, v31                                // 000000009180: 683E3E3C
	v_add_u32_e32 v32, 1, v31                                  // 000000009184: 68403E81
	v_add_u32_e32 v33, 2, v31                                  // 000000009188: 68423E82
	v_add_u32_e32 v34, 3, v31                                  // 00000000918C: 68443E83
	v_mov_b32_e32 v39, v55                                     // 000000009190: 7E4E0337
	v_cmp_lt_u32_e64 s[40:41], v31, v56                        // 000000009194: D0C90028 0002711F
	v_add_u32_e32 v31, 64, v31                                 // 00000000919C: 683E3EC0
	s_nop 0                                                    // 0000000091A0: BF800000
	v_cndmask_b32_e64 v112, v39, v112, s[40:41]                // 0000000091A4: D1000070 00A2E127
	v_cmp_lt_u32_e64 s[40:41], v32, v56                        // 0000000091AC: D0C90028 00027120
	v_add_u32_e32 v32, 64, v32                                 // 0000000091B4: 684040C0
	s_nop 0                                                    // 0000000091B8: BF800000
	v_cndmask_b32_e64 v113, v39, v113, s[40:41]                // 0000000091BC: D1000071 00A2E327
	v_cmp_lt_u32_e64 s[40:41], v33, v56                        // 0000000091C4: D0C90028 00027121
	v_add_u32_e32 v33, 64, v33                                 // 0000000091CC: 684242C0
	s_nop 0                                                    // 0000000091D0: BF800000
	v_cndmask_b32_e64 v114, v39, v114, s[40:41]                // 0000000091D4: D1000072 00A2E527
	v_cmp_lt_u32_e64 s[40:41], v34, v56                        // 0000000091DC: D0C90028 00027122
	v_add_u32_e32 v34, 64, v34                                 // 0000000091E4: 684444C0
	s_nop 0                                                    // 0000000091E8: BF800000
	v_cndmask_b32_e64 v115, v39, v115, s[40:41]                // 0000000091EC: D1000073 00A2E727
	v_cmp_lt_u32_e64 s[40:41], v31, v56                        // 0000000091F4: D0C90028 0002711F
	v_add_u32_e32 v31, 64, v31                                 // 0000000091FC: 683E3EC0
	s_nop 0                                                    // 000000009200: BF800000
	v_cndmask_b32_e64 v116, v39, v116, s[40:41]                // 000000009204: D1000074 00A2E927
	v_cmp_lt_u32_e64 s[40:41], v32, v56                        // 00000000920C: D0C90028 00027120
	v_add_u32_e32 v32, 64, v32                                 // 000000009214: 684040C0
	s_nop 0                                                    // 000000009218: BF800000
	v_cndmask_b32_e64 v117, v39, v117, s[40:41]                // 00000000921C: D1000075 00A2EB27
	v_cmp_lt_u32_e64 s[40:41], v33, v56                        // 000000009224: D0C90028 00027121
	v_add_u32_e32 v33, 64, v33                                 // 00000000922C: 684242C0
	s_nop 0                                                    // 000000009230: BF800000
	v_cndmask_b32_e64 v118, v39, v118, s[40:41]                // 000000009234: D1000076 00A2ED27
	v_cmp_lt_u32_e64 s[40:41], v34, v56                        // 00000000923C: D0C90028 00027122
	v_add_u32_e32 v34, 64, v34                                 // 000000009244: 684444C0
	s_nop 0                                                    // 000000009248: BF800000
	v_cndmask_b32_e64 v119, v39, v119, s[40:41]                // 00000000924C: D1000077 00A2EF27
	v_cmp_lt_u32_e64 s[40:41], v31, v56                        // 000000009254: D0C90028 0002711F
	v_add_u32_e32 v31, 64, v31                                 // 00000000925C: 683E3EC0
	s_nop 0                                                    // 000000009260: BF800000
	v_cndmask_b32_e64 v120, v39, v120, s[40:41]                // 000000009264: D1000078 00A2F127
	v_cmp_lt_u32_e64 s[40:41], v32, v56                        // 00000000926C: D0C90028 00027120
	v_add_u32_e32 v32, 64, v32                                 // 000000009274: 684040C0
	s_nop 0                                                    // 000000009278: BF800000
	v_cndmask_b32_e64 v121, v39, v121, s[40:41]                // 00000000927C: D1000079 00A2F327
	v_cmp_lt_u32_e64 s[40:41], v33, v56                        // 000000009284: D0C90028 00027121
	v_add_u32_e32 v33, 64, v33                                 // 00000000928C: 684242C0
	s_nop 0                                                    // 000000009290: BF800000
	v_cndmask_b32_e64 v122, v39, v122, s[40:41]                // 000000009294: D100007A 00A2F527
	v_cmp_lt_u32_e64 s[40:41], v34, v56                        // 00000000929C: D0C90028 00027122
	v_add_u32_e32 v34, 64, v34                                 // 0000000092A4: 684444C0
	s_nop 0                                                    // 0000000092A8: BF800000
	v_cndmask_b32_e64 v123, v39, v123, s[40:41]                // 0000000092AC: D100007B 00A2F727
	v_cmp_lt_u32_e64 s[40:41], v31, v56                        // 0000000092B4: D0C90028 0002711F
	v_add_u32_e32 v31, 64, v31                                 // 0000000092BC: 683E3EC0
	s_nop 0                                                    // 0000000092C0: BF800000
	v_cndmask_b32_e64 v124, v39, v124, s[40:41]                // 0000000092C4: D100007C 00A2F927
	v_cmp_lt_u32_e64 s[40:41], v32, v56                        // 0000000092CC: D0C90028 00027120
	v_add_u32_e32 v32, 64, v32                                 // 0000000092D4: 684040C0
	s_nop 0                                                    // 0000000092D8: BF800000
	v_cndmask_b32_e64 v125, v39, v125, s[40:41]                // 0000000092DC: D100007D 00A2FB27
	v_cmp_lt_u32_e64 s[40:41], v33, v56                        // 0000000092E4: D0C90028 00027121
	v_add_u32_e32 v33, 64, v33                                 // 0000000092EC: 684242C0
	s_nop 0                                                    // 0000000092F0: BF800000
	v_cndmask_b32_e64 v126, v39, v126, s[40:41]                // 0000000092F4: D100007E 00A2FD27
	v_cmp_lt_u32_e64 s[40:41], v34, v56                        // 0000000092FC: D0C90028 00027122
	v_add_u32_e32 v34, 64, v34                                 // 000000009304: 684444C0
	s_nop 0                                                    // 000000009308: BF800000
	v_cndmask_b32_e64 v127, v39, v127, s[40:41]                // 00000000930C: D100007F 00A2FF27
	s_nop 8                                                    // 000000009314: BF800008
	v_mov_b32_e32 v50, v112                                    // 000000009318: 7E640370
	v_max3_f32 v50, v112, v113, v50                            // 00000000931C: D1D30032 04CAE370
	v_max3_f32 v50, v114, v115, v50                            // 000000009324: D1D30032 04CAE772
	v_max3_f32 v50, v116, v117, v50                            // 00000000932C: D1D30032 04CAEB74
	v_max3_f32 v50, v118, v119, v50                            // 000000009334: D1D30032 04CAEF76
	v_max3_f32 v50, v120, v121, v50                            // 00000000933C: D1D30032 04CAF378
	v_max3_f32 v50, v122, v123, v50                            // 000000009344: D1D30032 04CAF77A
	v_max3_f32 v50, v124, v125, v50                            // 00000000934C: D1D30032 04CAFB7C
	v_max3_f32 v50, v126, v127, v50                            // 000000009354: D1D30032 04CAFF7E
	ds_write_b32 v11, v50                                      // 00000000935C: D81A0000 0000320B
	s_waitcnt lgkmcnt(0)                                       // 000000009364: BF8CC07F
	s_barrier                                                  // 000000009368: BF8A0000
	ds_read_b32 v64, v10                                       // 00000000936C: D86C0000 4000000A
	ds_read_b32 v65, v10 offset:64                             // 000000009374: D86C0040 4100000A
	ds_read_b32 v66, v10 offset:128                            // 00000000937C: D86C0080 4200000A
	ds_read_b32 v67, v10 offset:192                            // 000000009384: D86C00C0 4300000A
	ds_read_b32 v68, v10 offset:256                            // 00000000938C: D86C0100 4400000A
	ds_read_b32 v69, v10 offset:320                            // 000000009394: D86C0140 4500000A
	ds_read_b32 v70, v10 offset:384                            // 00000000939C: D86C0180 4600000A
	ds_read_b32 v71, v10 offset:448                            // 0000000093A4: D86C01C0 4700000A
	ds_read_b32 v72, v10 offset:512                            // 0000000093AC: D86C0200 4800000A
	ds_read_b32 v73, v10 offset:576                            // 0000000093B4: D86C0240 4900000A
	ds_read_b32 v74, v10 offset:640                            // 0000000093BC: D86C0280 4A00000A
	ds_read_b32 v75, v10 offset:704                            // 0000000093C4: D86C02C0 4B00000A
	ds_read_b32 v76, v10 offset:768                            // 0000000093CC: D86C0300 4C00000A
	ds_read_b32 v77, v10 offset:832                            // 0000000093D4: D86C0340 4D00000A
	ds_read_b32 v78, v10 offset:896                            // 0000000093DC: D86C0380 4E00000A
	ds_read_b32 v79, v10 offset:960                            // 0000000093E4: D86C03C0 4F00000A
	s_waitcnt lgkmcnt(0)                                       // 0000000093EC: BF8CC07F
	v_max3_f32 v50, v64, v65, v50                              // 0000000093F0: D1D30032 04CA8340
	v_max3_f32 v50, v66, v67, v50                              // 0000000093F8: D1D30032 04CA8742
	v_max3_f32 v50, v68, v69, v50                              // 000000009400: D1D30032 04CA8B44
	v_max3_f32 v50, v70, v71, v50                              // 000000009408: D1D30032 04CA8F46
	v_max3_f32 v50, v72, v73, v50                              // 000000009410: D1D30032 04CA9348
	v_max3_f32 v50, v74, v75, v50                              // 000000009418: D1D30032 04CA974A
	v_max3_f32 v50, v76, v77, v50                              // 000000009420: D1D30032 04CA9B4C
	v_max3_f32 v50, v78, v79, v50                              // 000000009428: D1D30032 04CA9F4E
	v_cmp_eq_u32_e64 s[40:41], v55, v14                        // 000000009430: D0CA0028 00021D37
	s_nop 1                                                    // 000000009438: BF800001
	v_max_f32_e32 v16, v50, v14                                // 00000000943C: 16201D32
	v_sub_f32_e32 v51, v14, v16                                // 000000009440: 0466210E
	v_cndmask_b32_e64 v51, v51, 0, s[40:41]                    // 000000009444: D1000033 00A10133
	v_mov_b32_e32 v14, v16                                     // 00000000944C: 7E1C0310
	v_mul_f32_e32 v53, s64, v16                                // 000000009450: 0A6A2040
	v_mul_f32_e32 v51, s64, v51                                // 000000009454: 0A666640
	v_exp_f32_e32 v51, v51                                     // 000000009458: 7E664133
	v_fma_f32 v112, v112, s64, -v53                            // 00000000945C: D1CB0070 84D48170
	v_fma_f32 v113, v113, s64, -v53                            // 000000009464: D1CB0071 84D48171
	v_fma_f32 v114, v114, s64, -v53                            // 00000000946C: D1CB0072 84D48172
	v_fma_f32 v115, v115, s64, -v53                            // 000000009474: D1CB0073 84D48173
	v_fma_f32 v116, v116, s64, -v53                            // 00000000947C: D1CB0074 84D48174
	v_fma_f32 v117, v117, s64, -v53                            // 000000009484: D1CB0075 84D48175
	v_fma_f32 v118, v118, s64, -v53                            // 00000000948C: D1CB0076 84D48176
	v_fma_f32 v119, v119, s64, -v53                            // 000000009494: D1CB0077 84D48177
	v_fma_f32 v120, v120, s64, -v53                            // 00000000949C: D1CB0078 84D48178
	v_fma_f32 v121, v121, s64, -v53                            // 0000000094A4: D1CB0079 84D48179
	v_fma_f32 v122, v122, s64, -v53                            // 0000000094AC: D1CB007A 84D4817A
	v_fma_f32 v123, v123, s64, -v53                            // 0000000094B4: D1CB007B 84D4817B
	v_fma_f32 v124, v124, s64, -v53                            // 0000000094BC: D1CB007C 84D4817C
	v_fma_f32 v125, v125, s64, -v53                            // 0000000094C4: D1CB007D 84D4817D
	v_fma_f32 v126, v126, s64, -v53                            // 0000000094CC: D1CB007E 84D4817E
	v_fma_f32 v127, v127, s64, -v53                            // 0000000094D4: D1CB007F 84D4817F
	v_exp_f32_e32 v112, v112                                   // 0000000094DC: 7EE04170
	v_exp_f32_e32 v113, v113                                   // 0000000094E0: 7EE24171
	v_exp_f32_e32 v114, v114                                   // 0000000094E4: 7EE44172
	v_exp_f32_e32 v115, v115                                   // 0000000094E8: 7EE64173
	v_exp_f32_e32 v116, v116                                   // 0000000094EC: 7EE84174
	v_exp_f32_e32 v117, v117                                   // 0000000094F0: 7EEA4175
	v_exp_f32_e32 v118, v118                                   // 0000000094F4: 7EEC4176
	v_exp_f32_e32 v119, v119                                   // 0000000094F8: 7EEE4177
	v_exp_f32_e32 v120, v120                                   // 0000000094FC: 7EF04178
	v_exp_f32_e32 v121, v121                                   // 000000009500: 7EF24179
	v_exp_f32_e32 v122, v122                                   // 000000009504: 7EF4417A
	v_exp_f32_e32 v123, v123                                   // 000000009508: 7EF6417B
	v_exp_f32_e32 v124, v124                                   // 00000000950C: 7EF8417C
	v_exp_f32_e32 v125, v125                                   // 000000009510: 7EFA417D
	v_exp_f32_e32 v126, v126                                   // 000000009514: 7EFC417E
	v_exp_f32_e32 v127, v127                                   // 000000009518: 7EFE417F
	v_mul_f32_e32 v43, v51, v43                                // 00000000951C: 0A565733
	v_mov_b32_e32 v45, v112                                    // 000000009520: 7E5A0370
	v_add_f32_e32 v45, v113, v45                               // 000000009524: 025A5B71
	v_add_f32_e32 v45, v114, v45                               // 000000009528: 025A5B72
	v_add_f32_e32 v45, v115, v45                               // 00000000952C: 025A5B73
	v_add_f32_e32 v45, v116, v45                               // 000000009530: 025A5B74
	v_add_f32_e32 v45, v117, v45                               // 000000009534: 025A5B75
	v_add_f32_e32 v45, v118, v45                               // 000000009538: 025A5B76
	v_add_f32_e32 v45, v119, v45                               // 00000000953C: 025A5B77
	v_add_f32_e32 v45, v120, v45                               // 000000009540: 025A5B78
	v_add_f32_e32 v45, v121, v45                               // 000000009544: 025A5B79
	v_add_f32_e32 v45, v122, v45                               // 000000009548: 025A5B7A
	v_add_f32_e32 v45, v123, v45                               // 00000000954C: 025A5B7B
	v_add_f32_e32 v45, v124, v45                               // 000000009550: 025A5B7C
	v_add_f32_e32 v45, v125, v45                               // 000000009554: 025A5B7D
	v_add_f32_e32 v45, v126, v45                               // 000000009558: 025A5B7E
	v_add_f32_e32 v45, v127, v45                               // 00000000955C: 025A5B7F
	v_add_f32_e32 v43, v45, v43                                // 000000009560: 0256572D
	v_cvt_pkrtz_f16_f32 v39, v112, v113                        // 000000009564: D2960027 0002E370
	v_mov_b32_e32 v112, v39                                    // 00000000956C: 7EE00327
	v_cvt_pkrtz_f16_f32 v39, v114, v115                        // 000000009570: D2960027 0002E772
	v_mov_b32_e32 v113, v39                                    // 000000009578: 7EE20327
	v_cvt_pkrtz_f16_f32 v39, v116, v117                        // 00000000957C: D2960027 0002EB74
	v_mov_b32_e32 v114, v39                                    // 000000009584: 7EE40327
	v_cvt_pkrtz_f16_f32 v39, v118, v119                        // 000000009588: D2960027 0002EF76
	v_mov_b32_e32 v115, v39                                    // 000000009590: 7EE60327
	v_cvt_pkrtz_f16_f32 v39, v120, v121                        // 000000009594: D2960027 0002F378
	v_mov_b32_e32 v116, v39                                    // 00000000959C: 7EE80327
	v_cvt_pkrtz_f16_f32 v39, v122, v123                        // 0000000095A0: D2960027 0002F77A
	v_mov_b32_e32 v117, v39                                    // 0000000095A8: 7EEA0327
	v_cvt_pkrtz_f16_f32 v39, v124, v125                        // 0000000095AC: D2960027 0002FB7C
	v_mov_b32_e32 v118, v39                                    // 0000000095B4: 7EEC0327
	v_cvt_pkrtz_f16_f32 v39, v126, v127                        // 0000000095B8: D2960027 0002FF7E
	v_mov_b32_e32 v119, v39                                    // 0000000095C0: 7EEE0327
	ds_write_b64 v13, v[112:113] offset:4096                   // 0000000095C4: D89A1000 0000700D
	ds_write_b64 v13, v[114:115] offset:6144                   // 0000000095CC: D89A1800 0000720D
	ds_write_b64 v13, v[116:117] offset:8192                   // 0000000095D4: D89A2000 0000740D
	ds_write_b64 v13, v[118:119] offset:10240                  // 0000000095DC: D89A2800 0000760D
	s_waitcnt lgkmcnt(0)                                       // 0000000095E4: BF8CC07F
	s_barrier                                                  // 0000000095E8: BF8A0000
	ds_read_b64 v[112:113], v12 offset:4096                    // 0000000095EC: D8EC1000 7000000C
	ds_read_b64 v[114:115], v12 offset:4224                    // 0000000095F4: D8EC1080 7200000C
	ds_read_b64 v[116:117], v12 offset:5120                    // 0000000095FC: D8EC1400 7400000C
	ds_read_b64 v[118:119], v12 offset:5248                    // 000000009604: D8EC1480 7600000C
	ds_read_b64 v[120:121], v12 offset:6144                    // 00000000960C: D8EC1800 7800000C
	ds_read_b64 v[122:123], v12 offset:6272                    // 000000009614: D8EC1880 7A00000C
	ds_read_b64 v[124:125], v12 offset:7168                    // 00000000961C: D8EC1C00 7C00000C
	ds_read_b64 v[126:127], v12 offset:7296                    // 000000009624: D8EC1C80 7E00000C
	ds_read_b64 v[128:129], v12 offset:8192                    // 00000000962C: D8EC2000 8000000C
	ds_read_b64 v[130:131], v12 offset:8320                    // 000000009634: D8EC2080 8200000C
	ds_read_b64 v[132:133], v12 offset:9216                    // 00000000963C: D8EC2400 8400000C
	ds_read_b64 v[134:135], v12 offset:9344                    // 000000009644: D8EC2480 8600000C
	ds_read_b64 v[136:137], v12 offset:10240                   // 00000000964C: D8EC2800 8800000C
	ds_read_b64 v[138:139], v12 offset:10368                   // 000000009654: D8EC2880 8A00000C
	ds_read_b64 v[140:141], v12 offset:11264                   // 00000000965C: D8EC2C00 8C00000C
	ds_read_b64 v[142:143], v12 offset:11392                   // 000000009664: D8EC2C80 8E00000C
	s_waitcnt lgkmcnt(0)                                       // 00000000966C: BF8CC07F
	v_mul_f32_e32 v176, v51, v176                              // 000000009670: 0B616133
	v_mul_f32_e32 v177, v51, v177                              // 000000009674: 0B636333
	v_mul_f32_e32 v178, v51, v178                              // 000000009678: 0B656533
	v_mul_f32_e32 v179, v51, v179                              // 00000000967C: 0B676733
	v_mul_f32_e32 v180, v51, v180                              // 000000009680: 0B696933
	v_mul_f32_e32 v181, v51, v181                              // 000000009684: 0B6B6B33
	v_mul_f32_e32 v182, v51, v182                              // 000000009688: 0B6D6D33
	v_mul_f32_e32 v183, v51, v183                              // 00000000968C: 0B6F6F33
	s_waitcnt vmcnt(0)                                         // 000000009690: BF8C0F70
	s_barrier                                                  // 000000009694: BF8A0000
	v_mfma_f32_16x16x16_f16 v[176:179], a[192:193], v[112:113], v[176:179]// 000000009698: D3CD00B0 0EC2E1C0
	v_mfma_f32_16x16x16_f16 v[176:179], a[194:195], v[114:115], v[176:179]// 0000000096A0: D3CD00B0 0EC2E5C2
	v_mfma_f32_16x16x16_f16 v[176:179], a[196:197], v[116:117], v[176:179]// 0000000096A8: D3CD00B0 0EC2E9C4
	v_mfma_f32_16x16x16_f16 v[176:179], a[198:199], v[118:119], v[176:179]// 0000000096B0: D3CD00B0 0EC2EDC6
	v_mfma_f32_16x16x16_f16 v[176:179], a[200:201], v[120:121], v[176:179]// 0000000096B8: D3CD00B0 0EC2F1C8
	v_mfma_f32_16x16x16_f16 v[176:179], a[202:203], v[122:123], v[176:179]// 0000000096C0: D3CD00B0 0EC2F5CA
	v_mfma_f32_16x16x16_f16 v[176:179], a[204:205], v[124:125], v[176:179]// 0000000096C8: D3CD00B0 0EC2F9CC
	v_mfma_f32_16x16x16_f16 v[176:179], a[206:207], v[126:127], v[176:179]// 0000000096D0: D3CD00B0 0EC2FDCE
	v_mfma_f32_16x16x16_f16 v[176:179], a[208:209], v[128:129], v[176:179]// 0000000096D8: D3CD00B0 0EC301D0
	v_mfma_f32_16x16x16_f16 v[176:179], a[210:211], v[130:131], v[176:179]// 0000000096E0: D3CD00B0 0EC305D2
	v_mfma_f32_16x16x16_f16 v[176:179], a[212:213], v[132:133], v[176:179]// 0000000096E8: D3CD00B0 0EC309D4
	v_mfma_f32_16x16x16_f16 v[176:179], a[214:215], v[134:135], v[176:179]// 0000000096F0: D3CD00B0 0EC30DD6
	v_mfma_f32_16x16x16_f16 v[176:179], a[216:217], v[136:137], v[176:179]// 0000000096F8: D3CD00B0 0EC311D8
	v_mfma_f32_16x16x16_f16 v[176:179], a[218:219], v[138:139], v[176:179]// 000000009700: D3CD00B0 0EC315DA
	v_mfma_f32_16x16x16_f16 v[176:179], a[220:221], v[140:141], v[176:179]// 000000009708: D3CD00B0 0EC319DC
	v_mfma_f32_16x16x16_f16 v[176:179], a[222:223], v[142:143], v[176:179]// 000000009710: D3CD00B0 0EC31DDE
	v_mfma_f32_16x16x16_f16 v[180:183], a[224:225], v[112:113], v[180:183]// 000000009718: D3CD00B4 0ED2E1E0
	v_mfma_f32_16x16x16_f16 v[180:183], a[226:227], v[114:115], v[180:183]// 000000009720: D3CD00B4 0ED2E5E2
	v_mfma_f32_16x16x16_f16 v[180:183], a[228:229], v[116:117], v[180:183]// 000000009728: D3CD00B4 0ED2E9E4
	v_mfma_f32_16x16x16_f16 v[180:183], a[230:231], v[118:119], v[180:183]// 000000009730: D3CD00B4 0ED2EDE6
	v_mfma_f32_16x16x16_f16 v[180:183], a[232:233], v[120:121], v[180:183]// 000000009738: D3CD00B4 0ED2F1E8
	v_mfma_f32_16x16x16_f16 v[180:183], a[234:235], v[122:123], v[180:183]// 000000009740: D3CD00B4 0ED2F5EA
	v_mfma_f32_16x16x16_f16 v[180:183], a[236:237], v[124:125], v[180:183]// 000000009748: D3CD00B4 0ED2F9EC
	v_mfma_f32_16x16x16_f16 v[180:183], a[238:239], v[126:127], v[180:183]// 000000009750: D3CD00B4 0ED2FDEE
	v_mfma_f32_16x16x16_f16 v[180:183], a[240:241], v[128:129], v[180:183]// 000000009758: D3CD00B4 0ED301F0
	v_mfma_f32_16x16x16_f16 v[180:183], a[242:243], v[130:131], v[180:183]// 000000009760: D3CD00B4 0ED305F2
	v_mfma_f32_16x16x16_f16 v[180:183], a[244:245], v[132:133], v[180:183]// 000000009768: D3CD00B4 0ED309F4
	v_mfma_f32_16x16x16_f16 v[180:183], a[246:247], v[134:135], v[180:183]// 000000009770: D3CD00B4 0ED30DF6
	v_mfma_f32_16x16x16_f16 v[180:183], a[248:249], v[136:137], v[180:183]// 000000009778: D3CD00B4 0ED311F8
	v_mfma_f32_16x16x16_f16 v[180:183], a[250:251], v[138:139], v[180:183]// 000000009780: D3CD00B4 0ED315FA
	v_mfma_f32_16x16x16_f16 v[180:183], a[252:253], v[140:141], v[180:183]// 000000009788: D3CD00B4 0ED319FC
	v_mfma_f32_16x16x16_f16 v[180:183], a[254:255], v[142:143], v[180:183]// 000000009790: D3CD00B4 0ED31DFE
	s_nop 8                                                    // 000000009798: BF800008
	s_branch label_1D69                                        // 00000000979C: BF820000

00000000000097a0 <label_1D69>:
	ds_write_b32 v11, v43                                      // 0000000097A0: D81A0000 00002B0B
	s_waitcnt lgkmcnt(0)                                       // 0000000097A8: BF8CC07F
	s_barrier                                                  // 0000000097AC: BF8A0000
	ds_read_b32 v64, v10                                       // 0000000097B0: D86C0000 4000000A
	ds_read_b32 v65, v10 offset:64                             // 0000000097B8: D86C0040 4100000A
	ds_read_b32 v66, v10 offset:128                            // 0000000097C0: D86C0080 4200000A
	ds_read_b32 v67, v10 offset:192                            // 0000000097C8: D86C00C0 4300000A
	ds_read_b32 v68, v10 offset:256                            // 0000000097D0: D86C0100 4400000A
	ds_read_b32 v69, v10 offset:320                            // 0000000097D8: D86C0140 4500000A
	ds_read_b32 v70, v10 offset:384                            // 0000000097E0: D86C0180 4600000A
	ds_read_b32 v71, v10 offset:448                            // 0000000097E8: D86C01C0 4700000A
	ds_read_b32 v72, v10 offset:512                            // 0000000097F0: D86C0200 4800000A
	ds_read_b32 v73, v10 offset:576                            // 0000000097F8: D86C0240 4900000A
	ds_read_b32 v74, v10 offset:640                            // 000000009800: D86C0280 4A00000A
	ds_read_b32 v75, v10 offset:704                            // 000000009808: D86C02C0 4B00000A
	ds_read_b32 v76, v10 offset:768                            // 000000009810: D86C0300 4C00000A
	ds_read_b32 v77, v10 offset:832                            // 000000009818: D86C0340 4D00000A
	ds_read_b32 v78, v10 offset:896                            // 000000009820: D86C0380 4E00000A
	ds_read_b32 v79, v10 offset:960                            // 000000009828: D86C03C0 4F00000A
	s_waitcnt lgkmcnt(0)                                       // 000000009830: BF8CC07F
	v_mov_b32_e32 v43, 0                                       // 000000009834: 7E560280
	v_add_f32_e32 v43, v64, v43                                // 000000009838: 02565740
	v_add_f32_e32 v43, v65, v43                                // 00000000983C: 02565741
	v_add_f32_e32 v43, v66, v43                                // 000000009840: 02565742
	v_add_f32_e32 v43, v67, v43                                // 000000009844: 02565743
	;; [unrolled: 1-line block ×3, first 2 shown]
	v_add_f32_e32 v43, v69, v43                                // 00000000984C: 02565745
	v_add_f32_e32 v43, v70, v43                                // 000000009850: 02565746
	v_add_f32_e32 v43, v71, v43                                // 000000009854: 02565747
	;; [unrolled: 1-line block ×3, first 2 shown]
	v_add_f32_e32 v43, v73, v43                                // 00000000985C: 02565749
	v_add_f32_e32 v43, v74, v43                                // 000000009860: 0256574A
	v_add_f32_e32 v43, v75, v43                                // 000000009864: 0256574B
	v_add_f32_e32 v43, v76, v43                                // 000000009868: 0256574C
	v_add_f32_e32 v43, v77, v43                                // 00000000986C: 0256574D
	v_add_f32_e32 v43, v78, v43                                // 000000009870: 0256574E
	v_add_f32_e32 v43, v79, v43                                // 000000009874: 0256574F
	s_nop 1                                                    // 000000009878: BF800001
	v_rcp_f32_e32 v43, v43                                     // 00000000987C: 7E56452B
	s_nop 1                                                    // 000000009880: BF800001
	v_mul_f32_e32 v176, v43, v176                              // 000000009884: 0B61612B
	v_mul_f32_e32 v177, v43, v177                              // 000000009888: 0B63632B
	v_mul_f32_e32 v178, v43, v178                              // 00000000988C: 0B65652B
	v_mul_f32_e32 v179, v43, v179                              // 000000009890: 0B67672B
	v_mul_f32_e32 v180, v43, v180                              // 000000009894: 0B69692B
	v_mul_f32_e32 v181, v43, v181                              // 000000009898: 0B6B6B2B
	v_mul_f32_e32 v182, v43, v182                              // 00000000989C: 0B6D6D2B
	v_mul_f32_e32 v183, v43, v183                              // 0000000098A0: 0B6F6F2B
	v_cvt_pkrtz_f16_f32 v39, v176, v177                        // 0000000098A4: D2960027 000363B0
	v_mov_b32_e32 v176, v39                                    // 0000000098AC: 7F600327
	v_cvt_pkrtz_f16_f32 v39, v178, v179                        // 0000000098B0: D2960027 000367B2
	v_mov_b32_e32 v177, v39                                    // 0000000098B8: 7F620327
	v_cvt_pkrtz_f16_f32 v39, v180, v181                        // 0000000098BC: D2960027 00036BB4
	v_mov_b32_e32 v178, v39                                    // 0000000098C4: 7F640327
	v_cvt_pkrtz_f16_f32 v39, v182, v183                        // 0000000098C8: D2960027 00036FB6
	v_mov_b32_e32 v179, v39                                    // 0000000098D0: 7F660327
	v_lshrrev_b32_e32 v39, 4, v0                               // 0000000098D4: 204E0084
	v_mul_i32_i24_e32 v5, 34, v39                              // 0000000098D8: 0C0A4EA2
	v_and_b32_e32 v39, 15, v0                                  // 0000000098DC: 264E008F
	v_mul_i32_i24_e32 v40, 2, v39                              // 0000000098E0: 0C504E82
	v_add_u32_e32 v5, v40, v5                                  // 0000000098E4: 680A0B28
	s_mul_i32 s60, s7, 0x88                                    // 0000000098E8: 923CFF07 00000088
	v_add_u32_e32 v5, s60, v5                                  // 0000000098F0: 680A0A3C
	v_lshlrev_b32_e32 v5, 2, v5                                // 0000000098F4: 240A0A82
	ds_write_b64 v5, v[176:177] offset:36864                   // 0000000098F8: D89A9000 0000B005
	ds_write_b64 v5, v[178:179] offset:39040                   // 000000009900: D89A9880 0000B205
	v_lshrrev_b32_e32 v39, 1, v0                               // 000000009908: 204E0081
	v_mul_i32_i24_e32 v5, 34, v39                              // 00000000990C: 0C0A4EA2
	v_and_b32_e32 v40, 1, v0                                   // 000000009910: 26500081
	v_add_u32_e32 v5, v40, v5                                  // 000000009914: 680A0B28
	s_mul_i32 s60, s7, 2                                       // 000000009918: 923C8207
	v_add_u32_e32 v5, s60, v5                                  // 00000000991C: 680A0A3C
	v_lshlrev_b32_e32 v5, 2, v5                                // 000000009920: 240A0A82
	s_waitcnt lgkmcnt(0)                                       // 000000009924: BF8CC07F
	s_barrier                                                  // 000000009928: BF8A0000
	ds_read_b32 v176, v5 offset:36864                          // 00000000992C: D86C9000 B0000005
	ds_read_b32 v177, v5 offset:36896                          // 000000009934: D86C9020 B1000005
	ds_read_b32 v178, v5 offset:36928                          // 00000000993C: D86C9040 B2000005
	ds_read_b32 v179, v5 offset:36960                          // 000000009944: D86C9060 B3000005
	s_waitcnt lgkmcnt(0)                                       // 00000000994C: BF8CC07F
	buffer_store_dword v176, v8, s[8:11], 0 offen              // 000000009950: E0701000 8002B008
	buffer_store_dword v177, v8, s[8:11], 0 offen offset:1024  // 000000009958: E0701400 8002B108
	s_add_u32 s8, s75, s8                                      // 000000009960: 8008084B
	s_addc_u32 s9, 0, s9                                       // 000000009964: 82090980
	buffer_store_dword v178, v8, s[8:11], 0 offen              // 000000009968: E0701000 8002B208
	buffer_store_dword v179, v8, s[8:11], 0 offen offset:1024  // 000000009970: E0701400 8002B308
	s_add_u32 s8, s75, s8                                      // 000000009978: 8008084B
	s_addc_u32 s9, 0, s9                                       // 00000000997C: 82090980
	s_branch label_3B1B                                        // 000000009980: BF821D39

0000000000009984 <label_1DE2>:
	s_mov_b32 s88, 0xa0                                        // 000000009984: BED800FF 000000A0
	s_mul_i32 s60, s3, s65                                     // 00000000998C: 923C4103
	s_mul_i32 s60, s60, 4                                      // 000000009990: 923C843C
	s_add_u32 s24, s60, s24                                    // 000000009994: 8018183C
	s_addc_u32 s25, 0, s25                                     // 000000009998: 82191980
	s_sub_u32 s89, s72, s86                                    // 00000000999C: 80D95648
	s_mov_b32 s90, 0xff                                        // 0000000099A0: BEDA00FF 000000FF
	s_mov_b32 s91, 0x100                                       // 0000000099A8: BEDB00FF 00000100
	s_mov_b32 s56, 64                                          // 0000000099B0: BEB800C0
	s_waitcnt lgkmcnt(0)                                       // 0000000099B4: BF8CC07F
	s_add_u32 s73, s72, 15                                     // 0000000099B8: 80498F48
	s_lshr_b32 s73, s73, 4                                     // 0000000099BC: 8F498449
	s_mul_i32 s60, s73, 4                                      // 0000000099C0: 923C8449
	s_mov_b32 s26, s60                                         // 0000000099C4: BE9A003C
	v_and_b32_e32 v40, 3, v0                                   // 0000000099C8: 26500083
	v_cmp_eq_u32_e64 s[60:61], 0, v40                          // 0000000099CC: D0CA003C 00025080
	v_and_b32_e32 v39, 12, v0                                  // 0000000099D4: 264E008C
	v_add_u32_e32 v1, s7, v39                                  // 0000000099D8: 68024E07
	v_cndmask_b32_e64 v1, 0, v1, s[60:61]                      // 0000000099DC: D1000001 00F20280
	v_and_b32_e32 v40, 3, v0                                   // 0000000099E4: 26500083
	v_cmp_eq_u32_e64 s[60:61], 0, v40                          // 0000000099E8: D0CA003C 00025080
	v_lshrrev_b32_e32 v39, 5, v0                               // 0000000099F0: 204E0085
	v_and_b32_e32 v40, 14, v0                                  // 0000000099F4: 2650008E
	v_add_u32_e32 v39, v40, v39                                // 0000000099F8: 684E4F28
	v_cndmask_b32_e64 v39, v39, 0, s[60:61]                    // 0000000099FC: D1000027 00F10127
	v_add_u32_e32 v1, v1, v39                                  // 000000009A04: 68024F01
	v_lshlrev_b32_e32 v1, 2, v1                                // 000000009A08: 24020282
	v_writelane_b32 v1, 56, 7                                  // 000000009A0C: D28A0001 00010EB8
	v_writelane_b32 v1, 56, 23                                 // 000000009A14: D28A0001 00012EB8
	v_writelane_b32 v1, 60, 39                                 // 000000009A1C: D28A0001 00014EBC
	v_writelane_b32 v1, 60, 55                                 // 000000009A24: D28A0001 00016EBC
	buffer_load_dword v17, v1, s[24:27], 0 offen               // 000000009A2C: E0501000 80061101
	v_add_u32_e32 v1, s56, v1                                  // 000000009A34: 68020238
	buffer_load_dword v18, v1, s[24:27], 0 offen               // 000000009A38: E0501000 80061201
	s_cmp_le_u32 s73, 32                                       // 000000009A40: BF0BA049
	s_cselect_b32 s56, 0, s56                                  // 000000009A44: 85383880
	s_mul_i32 s61, s2, s67                                     // 000000009A48: 923D4302
	s_mul_i32 s60, s84, s74                                    // 000000009A4C: 923C4A54
	s_add_u32 s60, s60, s61                                    // 000000009A50: 803C3D3C
	s_add_u32 s12, s60, s12                                    // 000000009A54: 800C0C3C
	s_addc_u32 s13, 0, s13                                     // 000000009A58: 820D0D80
	s_mul_i32 s60, s7, 0x420                                   // 000000009A5C: 923CFF07 00000420
	s_add_u32 m0, 0, s60                                       // 000000009A64: 807C3C80
	s_mul_i32 s60, s7, 0x100                                   // 000000009A68: 923CFF07 00000100
	v_lshlrev_b32_e32 v39, 2, v0                               // 000000009A70: 244E0082
	v_add_u32_e64 v39, v39, s60                                // 000000009A74: D1340027 00007927
	v_add_u32_e32 v40, 0x400, v39                              // 000000009A7C: 68504EFF 00000400
	buffer_load_dword v39, s[12:15], 0 offen lds               // 000000009A84: E0511000 80030027
	s_add_u32 m0, m0, 0x100                                    // 000000009A8C: 807CFF7C 00000100
	buffer_load_dword v40, s[12:15], 0 offen lds               // 000000009A94: E0511000 80030028
	s_add_u32 m0, m0, 0x100                                    // 000000009A9C: 807CFF7C 00000100
	s_add_u32 s12, s74, s12                                    // 000000009AA4: 800C0C4A
	s_addc_u32 s13, 0, s13                                     // 000000009AA8: 820D0D80
	buffer_load_dword v39, s[12:15], 0 offen lds               // 000000009AAC: E0511000 80030027
	s_add_u32 m0, m0, 0x100                                    // 000000009AB4: 807CFF7C 00000100
	buffer_load_dword v40, s[12:15], 0 offen lds               // 000000009ABC: E0511000 80030028
	s_mul_i32 s60, 4, 0x420                                    // 000000009AC4: 923CFF84 00000420
	s_mul_i32 s61, s7, 0x420                                   // 000000009ACC: 923DFF07 00000420
	s_add_u32 m0, s60, s61                                     // 000000009AD4: 807C3D3C
	s_add_u32 s12, s74, s12                                    // 000000009AD8: 800C0C4A
	s_addc_u32 s13, 0, s13                                     // 000000009ADC: 820D0D80
	buffer_load_dword v39, s[12:15], 0 offen lds               // 000000009AE0: E0511000 80030027
	s_add_u32 m0, m0, 0x100                                    // 000000009AE8: 807CFF7C 00000100
	buffer_load_dword v40, s[12:15], 0 offen lds               // 000000009AF0: E0511000 80030028
	s_add_u32 m0, m0, 0x100                                    // 000000009AF8: 807CFF7C 00000100
	s_add_u32 s12, s74, s12                                    // 000000009B00: 800C0C4A
	s_addc_u32 s13, 0, s13                                     // 000000009B04: 820D0D80
	s_branch label_1EB0                                        // 000000009B08: BF82006C

0000000000009b0c <label_1E44>:
	s_mul_i32 s60, s3, s65                                     // 000000009B0C: 923C4103
	s_mul_i32 s60, s60, 4                                      // 000000009B10: 923C843C
	s_add_u32 s24, s60, s24                                    // 000000009B14: 8018183C
	s_addc_u32 s25, 0, s25                                     // 000000009B18: 82191980
	s_sub_u32 s89, s72, s86                                    // 000000009B1C: 80D95648
	s_mov_b32 s90, 0xff                                        // 000000009B20: BEDA00FF 000000FF
	s_mov_b32 s91, 0x100                                       // 000000009B28: BEDB00FF 00000100
	s_mov_b32 s56, 64                                          // 000000009B30: BEB800C0
	s_waitcnt lgkmcnt(0)                                       // 000000009B34: BF8CC07F
	s_add_u32 s73, s72, 15                                     // 000000009B38: 80498F48
	s_lshr_b32 s73, s73, 4                                     // 000000009B3C: 8F498449
	s_mul_i32 s60, s73, 4                                      // 000000009B40: 923C8449
	s_mov_b32 s26, s60                                         // 000000009B44: BE9A003C
	v_and_b32_e32 v40, 3, v0                                   // 000000009B48: 26500083
	v_cmp_eq_u32_e64 s[60:61], 0, v40                          // 000000009B4C: D0CA003C 00025080
	v_and_b32_e32 v39, 12, v0                                  // 000000009B54: 264E008C
	v_add_u32_e32 v1, s7, v39                                  // 000000009B58: 68024E07
	v_cndmask_b32_e64 v1, 0, v1, s[60:61]                      // 000000009B5C: D1000001 00F20280
	v_and_b32_e32 v40, 3, v0                                   // 000000009B64: 26500083
	v_cmp_eq_u32_e64 s[60:61], 0, v40                          // 000000009B68: D0CA003C 00025080
	v_lshrrev_b32_e32 v39, 5, v0                               // 000000009B70: 204E0085
	v_and_b32_e32 v40, 14, v0                                  // 000000009B74: 2650008E
	v_add_u32_e32 v39, v40, v39                                // 000000009B78: 684E4F28
	v_cndmask_b32_e64 v39, v39, 0, s[60:61]                    // 000000009B7C: D1000027 00F10127
	v_add_u32_e32 v1, v1, v39                                  // 000000009B84: 68024F01
	v_lshlrev_b32_e32 v1, 2, v1                                // 000000009B88: 24020282
	v_writelane_b32 v1, 56, 7                                  // 000000009B8C: D28A0001 00010EB8
	v_writelane_b32 v1, 56, 23                                 // 000000009B94: D28A0001 00012EB8
	v_writelane_b32 v1, 60, 39                                 // 000000009B9C: D28A0001 00014EBC
	v_writelane_b32 v1, 60, 55                                 // 000000009BA4: D28A0001 00016EBC
	buffer_load_dword v17, v1, s[24:27], 0 offen               // 000000009BAC: E0501000 80061101
	v_add_u32_e32 v1, s56, v1                                  // 000000009BB4: 68020238
	buffer_load_dword v18, v1, s[24:27], 0 offen               // 000000009BB8: E0501000 80061201
	s_cmp_le_u32 s73, 32                                       // 000000009BC0: BF0BA049
	s_cselect_b32 s56, 0, s56                                  // 000000009BC4: 85383880
	s_mul_i32 s61, s2, s67                                     // 000000009BC8: 923D4302
	s_mul_i32 s60, s84, s74                                    // 000000009BCC: 923C4A54
	s_add_u32 s60, s60, s61                                    // 000000009BD0: 803C3D3C
	s_add_u32 s12, s60, s12                                    // 000000009BD4: 800C0C3C
	s_addc_u32 s13, 0, s13                                     // 000000009BD8: 820D0D80
	s_mul_i32 s60, s7, 0x420                                   // 000000009BDC: 923CFF07 00000420
	s_add_u32 m0, 0, s60                                       // 000000009BE4: 807C3C80
	s_mul_i32 s60, s7, 0x100                                   // 000000009BE8: 923CFF07 00000100
	v_lshlrev_b32_e32 v39, 2, v0                               // 000000009BF0: 244E0082
	v_add_u32_e64 v39, v39, s60                                // 000000009BF4: D1340027 00007927
	v_add_u32_e32 v40, 0x400, v39                              // 000000009BFC: 68504EFF 00000400
	buffer_load_dword v39, s[12:15], 0 offen lds               // 000000009C04: E0511000 80030027
	s_add_u32 m0, m0, 0x100                                    // 000000009C0C: 807CFF7C 00000100
	buffer_load_dword v40, s[12:15], 0 offen lds               // 000000009C14: E0511000 80030028
	s_add_u32 m0, m0, 0x100                                    // 000000009C1C: 807CFF7C 00000100
	s_add_u32 s12, s74, s12                                    // 000000009C24: 800C0C4A
	s_addc_u32 s13, 0, s13                                     // 000000009C28: 820D0D80
	buffer_load_dword v39, s[12:15], 0 offen lds               // 000000009C2C: E0511000 80030027
	s_add_u32 m0, m0, 0x100                                    // 000000009C34: 807CFF7C 00000100
	buffer_load_dword v40, s[12:15], 0 offen lds               // 000000009C3C: E0511000 80030028
	s_mul_i32 s60, 4, 0x420                                    // 000000009C44: 923CFF84 00000420
	s_mul_i32 s61, s7, 0x420                                   // 000000009C4C: 923DFF07 00000420
	s_add_u32 m0, s60, s61                                     // 000000009C54: 807C3D3C
	s_add_u32 s12, s74, s12                                    // 000000009C58: 800C0C4A
	s_addc_u32 s13, 0, s13                                     // 000000009C5C: 820D0D80
	buffer_load_dword v39, s[12:15], 0 offen lds               // 000000009C60: E0511000 80030027
	s_add_u32 m0, m0, 0x100                                    // 000000009C68: 807CFF7C 00000100
	buffer_load_dword v40, s[12:15], 0 offen lds               // 000000009C70: E0511000 80030028
	s_add_u32 m0, m0, 0x100                                    // 000000009C78: 807CFF7C 00000100
	s_add_u32 s12, s74, s12                                    // 000000009C80: 800C0C4A
	s_addc_u32 s13, 0, s13                                     // 000000009C84: 820D0D80
	buffer_load_dword v39, s[12:15], 0 offen lds               // 000000009C88: E0511000 80030027
	s_add_u32 m0, m0, 0x100                                    // 000000009C90: 807CFF7C 00000100
	buffer_load_dword v40, s[12:15], 0 offen lds               // 000000009C98: E0511000 80030028
	s_mul_i32 s60, 4, 0x420                                    // 000000009CA0: 923CFF84 00000420
	s_mul_i32 s61, s7, 0x420                                   // 000000009CA8: 923DFF07 00000420
	s_add_u32 m0, s60, s61                                     // 000000009CB0: 807C3D3C
	s_add_u32 s12, s74, s12                                    // 000000009CB4: 800C0C4A
	s_addc_u32 s13, 0, s13                                     // 000000009CB8: 820D0D80

0000000000009cbc <label_1EB0>:
	s_mul_i32 s61, s2, s76                                     // 000000009CBC: 923D4C02
	s_mul_i32 s60, s84, s75                                    // 000000009CC0: 923C4B54
	s_add_u32 s60, s60, s61                                    // 000000009CC4: 803C3D3C
	s_add_u32 s8, s60, s8                                      // 000000009CC8: 8008083C
	s_addc_u32 s9, 0, s9                                       // 000000009CCC: 82090980
	s_mul_i32 s60, s7, 0x100                                   // 000000009CD0: 923CFF07 00000100
	v_lshlrev_b32_e32 v8, 2, v0                                // 000000009CD8: 24100082
	v_add_u32_e64 v8, v8, s60                                  // 000000009CDC: D1340008 00007908
	s_mov_b32 s70, 0                                           // 000000009CE4: BEC60080
	s_and_b32 s71, s72, 0xffffff00                             // 000000009CE8: 8647FF48 FFFFFF00
	v_mov_b32_e32 v54, s68                                     // 000000009CF0: 7E6C0244
	v_mov_b32_e32 v9, -1                                       // 000000009CF4: 7E1202C1
	s_mov_b32 s52, 0x7060302                                   // 000000009CF8: BEB400FF 07060302
	s_mov_b32 s53, 0x400                                       // 000000009D00: BEB500FF 00000400
	s_mov_b32 s54, 0x40100                                     // 000000009D08: BEB600FF 00040100
	s_mov_b32 s55, 0x4020100                                   // 000000009D10: BEB700FF 04020100
	v_mov_b32_dpp v9, v9 row_shl:8 row_mask:0xf bank_mask:0xf bound_ctrl:1// 000000009D18: 7E1202FA FF090809
	s_mov_b32 s6, 0x3fb8aa3b                                   // 000000009D20: BE8600FF 3FB8AA3B
	v_mov_b32_e32 v14, 0xff800000                              // 000000009D28: 7E1C02FF FF800000
	v_mov_b32_e32 v15, 0xff800000                              // 000000009D30: 7E1E02FF FF800000
	v_mov_b32_e32 v55, 0xff800000                              // 000000009D38: 7E6E02FF FF800000
	v_mov_b32_e32 v51, 0                                       // 000000009D40: 7E660280
	v_mov_b32_e32 v52, 0                                       // 000000009D44: 7E680280
	v_mov_b32_e32 v43, 0                                       // 000000009D48: 7E560280
	v_mov_b32_e32 v44, 0                                       // 000000009D4C: 7E580280
	v_mov_b32_e32 v20, 0xffff0000                              // 000000009D50: 7E2802FF FFFF0000
	v_mov_b32_e32 v21, 0x7fff0000                              // 000000009D58: 7E2A02FF 7FFF0000
	v_mov_b32_e32 v22, 0x7fff                                  // 000000009D60: 7E2C02FF 00007FFF
	v_add_u32_e32 v1, s56, v1                                  // 000000009D68: 68020238
	v_and_b32_e32 v10, 15, v0                                  // 000000009D6C: 2614008F
	v_lshlrev_b32_e32 v10, 2, v10                              // 000000009D70: 24141482
	v_lshlrev_b32_e32 v11, 2, v0                               // 000000009D74: 24160082
	s_mul_i32 s60, 0x100, s7                                   // 000000009D78: 923C07FF 00000100
	v_add_u32_e32 v11, s60, v11                                // 000000009D80: 6816163C
	v_lshrrev_b32_e32 v39, 4, v0                               // 000000009D84: 204E0084
	v_lshlrev_b32_e32 v40, 6, v39                              // 000000009D88: 24504E86
	v_and_b32_e32 v39, 15, v0                                  // 000000009D8C: 264E008F
	v_lshlrev_b32_e32 v39, 1, v39                              // 000000009D90: 244E4E81
	v_add_u32_e32 v40, v39, v40                                // 000000009D94: 68505127
	v_lshlrev_b32_e32 v12, 2, v40                              // 000000009D98: 24185082
	v_lshlrev_b32_e32 v39, 3, v0                               // 000000009D9C: 244E0083
	s_mul_i32 s60, 0x200, s7                                   // 000000009DA0: 923C07FF 00000200
	v_add_u32_e64 v13, v39, s60                                // 000000009DA8: D134000D 00007927
	v_lshlrev_b32_e32 v6, 4, v0                                // 000000009DB0: 240C0084
	s_mul_i32 s60, s2, s69                                     // 000000009DB4: 923C4502
	s_add_u32 s16, s60, s16                                    // 000000009DB8: 8010103C
	s_addc_u32 s17, 0, s17                                     // 000000009DBC: 82111180
	v_and_b32_e32 v39, 15, v0                                  // 000000009DC0: 264E008F
	v_lshlrev_b32_e32 v7, 4, v39                               // 000000009DC4: 240E4E84
	v_and_b32_e32 v39, 31, v0                                  // 000000009DC8: 264E009F
	v_lshrrev_b32_e32 v39, 4, v39                              // 000000009DCC: 204E4E84
	v_mul_i32_i24_e32 v39, 0x800, v39                          // 000000009DD0: 0C4E4EFF 00000800
	v_add_u32_e32 v7, v39, v7                                  // 000000009DD8: 680E0F27
	s_mul_i32 s61, s2, s69                                     // 000000009DDC: 923D4502
	s_mul_i32 s60, s7, 0x100                                   // 000000009DE0: 923CFF07 00000100
	s_add_u32 s60, s60, s61                                    // 000000009DE8: 803C3D3C
	s_add_u32 s20, s60, s20                                    // 000000009DEC: 8014143C
	s_addc_u32 s21, 0, s21                                     // 000000009DF0: 82151580
	s_waitcnt vmcnt(4)                                         // 000000009DF4: BF8C0F74
	v_mul_u32_u24_dpp v39, v17, v54 row_newbcast:0 row_mask:0xf bank_mask:0xf// 000000009DF8: 104E6CFA FF015011
	v_mul_u32_u24_dpp v40, v17, v54 row_newbcast:4 row_mask:0xf bank_mask:0xf// 000000009E00: 10506CFA FF015411
	v_mul_u32_u24_dpp v41, v17, v54 row_newbcast:8 row_mask:0xf bank_mask:0xf// 000000009E08: 10526CFA FF015811
	v_mul_u32_u24_dpp v42, v17, v54 row_newbcast:12 row_mask:0xf bank_mask:0xf// 000000009E10: 10546CFA FF015C11
	v_add_u32_e32 v23, v39, v6                                 // 000000009E18: 682E0D27
	v_add_u32_e32 v24, v40, v6                                 // 000000009E1C: 68300D28
	v_add_u32_e32 v25, v41, v6                                 // 000000009E20: 68320D29
	v_add_u32_e32 v26, v42, v6                                 // 000000009E24: 68340D2A
	v_mul_u32_u24_dpp v39, v17, v54 row_newbcast:1 row_mask:0xf bank_mask:0xf// 000000009E28: 104E6CFA FF015111
	v_mul_u32_u24_dpp v40, v17, v54 row_newbcast:2 row_mask:0xf bank_mask:0xf// 000000009E30: 10506CFA FF015211
	v_mul_u32_u24_dpp v41, v17, v54 row_newbcast:5 row_mask:0xf bank_mask:0xf// 000000009E38: 10526CFA FF015511
	v_mul_u32_u24_dpp v42, v17, v54 row_newbcast:6 row_mask:0xf bank_mask:0xf// 000000009E40: 10546CFA FF015611
	v_add_u32_e32 v192, v39, v7                                // 000000009E48: 69800F27
	v_add_u32_e32 v193, v40, v7                                // 000000009E4C: 69820F28
	v_add_u32_e32 v194, v41, v7                                // 000000009E50: 69840F29
	v_add_u32_e32 v195, v42, v7                                // 000000009E54: 69860F2A
	v_mul_u32_u24_dpp v39, v17, v54 row_newbcast:9 row_mask:0xf bank_mask:0xf// 000000009E58: 104E6CFA FF015911
	v_mul_u32_u24_dpp v40, v17, v54 row_newbcast:10 row_mask:0xf bank_mask:0xf// 000000009E60: 10506CFA FF015A11
	v_mul_u32_u24_dpp v41, v17, v54 row_newbcast:13 row_mask:0xf bank_mask:0xf// 000000009E68: 10526CFA FF015D11
	v_mul_u32_u24_dpp v42, v17, v54 row_newbcast:7 row_mask:0xf bank_mask:0xf// 000000009E70: 10546CFA FF015711
	v_add_u32_e32 v196, v39, v7                                // 000000009E78: 69880F27
	v_add_u32_e32 v197, v40, v7                                // 000000009E7C: 698A0F28
	v_add_u32_e32 v198, v41, v7                                // 000000009E80: 698C0F29
	v_add_u32_e32 v199, v42, v7                                // 000000009E84: 698E0F2A
	buffer_load_dwordx4 a[0:3], v23, s[16:19], 0 offen         // 000000009E88: E05C1000 80840017
	buffer_load_dwordx4 a[4:7], v23, s[16:19], 0 offen offset:1024// 000000009E90: E05C1400 80840417
	buffer_load_dwordx4 a[8:11], v23, s[16:19], 0 offen offset:2048// 000000009E98: E05C1800 80840817
	buffer_load_dwordx4 a[12:15], v23, s[16:19], 0 offen offset:3072// 000000009EA0: E05C1C00 80840C17
	buffer_load_dwordx4 a[16:19], v24, s[16:19], 0 offen       // 000000009EA8: E05C1000 80841018
	buffer_load_dwordx4 a[20:23], v24, s[16:19], 0 offen offset:1024// 000000009EB0: E05C1400 80841418
	buffer_load_dwordx4 a[24:27], v24, s[16:19], 0 offen offset:2048// 000000009EB8: E05C1800 80841818
	buffer_load_dwordx4 a[28:31], v24, s[16:19], 0 offen offset:3072// 000000009EC0: E05C1C00 80841C18
	buffer_load_dwordx4 a[32:35], v25, s[16:19], 0 offen       // 000000009EC8: E05C1000 80842019
	buffer_load_dwordx4 a[36:39], v25, s[16:19], 0 offen offset:1024// 000000009ED0: E05C1400 80842419
	buffer_load_dwordx4 a[40:43], v25, s[16:19], 0 offen offset:2048// 000000009ED8: E05C1800 80842819
	buffer_load_dwordx4 a[44:47], v25, s[16:19], 0 offen offset:3072// 000000009EE0: E05C1C00 80842C19
	buffer_load_dwordx4 a[48:51], v26, s[16:19], 0 offen       // 000000009EE8: E05C1000 8084301A
	buffer_load_dwordx4 a[52:55], v26, s[16:19], 0 offen offset:1024// 000000009EF0: E05C1400 8084341A
	buffer_load_dwordx4 a[56:59], v26, s[16:19], 0 offen offset:2048// 000000009EF8: E05C1800 8084381A
	buffer_load_dwordx4 a[60:63], v26, s[16:19], 0 offen offset:3072// 000000009F00: E05C1C00 80843C1A
	buffer_load_dwordx4 a[128:131], v192, s[20:23], 0 offen    // 000000009F08: E05C1000 808580C0
	buffer_load_dwordx4 a[132:135], v193, s[20:23], 0 offen    // 000000009F10: E05C1000 808584C1
	buffer_load_dwordx4 a[136:139], v194, s[20:23], 0 offen    // 000000009F18: E05C1000 808588C2
	buffer_load_dwordx4 a[140:143], v195, s[20:23], 0 offen    // 000000009F20: E05C1000 80858CC3
	buffer_load_dwordx4 a[144:147], v196, s[20:23], 0 offen    // 000000009F28: E05C1000 808590C4
	buffer_load_dwordx4 a[148:151], v197, s[20:23], 0 offen    // 000000009F30: E05C1000 808594C5
	buffer_load_dwordx4 a[152:155], v198, s[20:23], 0 offen    // 000000009F38: E05C1000 808598C6
	buffer_load_dwordx4 a[156:159], v199, s[20:23], 0 offen    // 000000009F40: E05C1000 80859CC7
	buffer_load_dwordx4 a[160:163], v192, s[20:23], 0 offen offset:1024// 000000009F48: E05C1400 8085A0C0
	buffer_load_dwordx4 a[164:167], v193, s[20:23], 0 offen offset:1024// 000000009F50: E05C1400 8085A4C1
	buffer_load_dwordx4 a[168:171], v194, s[20:23], 0 offen offset:1024// 000000009F58: E05C1400 8085A8C2
	buffer_load_dwordx4 a[172:175], v195, s[20:23], 0 offen offset:1024// 000000009F60: E05C1400 8085ACC3
	buffer_load_dwordx4 a[176:179], v196, s[20:23], 0 offen offset:1024// 000000009F68: E05C1400 8085B0C4
	buffer_load_dwordx4 a[180:183], v197, s[20:23], 0 offen offset:1024// 000000009F70: E05C1400 8085B4C5
	buffer_load_dwordx4 a[184:187], v198, s[20:23], 0 offen offset:1024// 000000009F78: E05C1400 8085B8C6
	buffer_load_dwordx4 a[188:191], v199, s[20:23], 0 offen offset:1024// 000000009F80: E05C1400 8085BCC7
	v_lshrrev_b32_e32 v39, 4, v0                               // 000000009F88: 204E0084
	v_lshlrev_b32_e32 v40, 2, v39                              // 000000009F8C: 24504E82
	v_and_b32_e32 v39, 15, v0                                  // 000000009F90: 264E008F
	v_lshrrev_b32_e32 v41, 2, v39                              // 000000009F94: 20524E82
	v_lshlrev_b32_e32 v41, 6, v41                              // 000000009F98: 24525286
	v_add_u32_e32 v40, v41, v40                                // 000000009F9C: 68505129
	v_and_b32_e32 v39, 3, v0                                   // 000000009FA0: 264E0083
	v_mul_i32_i24_e32 v41, 0x108, v39                          // 000000009FA4: 0C524EFF 00000108
	v_add_u32_e32 v40, v41, v40                                // 000000009FAC: 68505129
	v_lshlrev_b32_e32 v4, 2, v40                               // 000000009FB0: 24085082
	s_waitcnt vmcnt(32) lgkmcnt(0)                             // 000000009FB4: BF8C8070
	s_barrier                                                  // 000000009FB8: BF8A0000
	ds_read_b128 v[80:83], v4                                  // 000000009FBC: D9FE0000 50000004
	ds_read_b128 v[84:87], v4 offset:64                        // 000000009FC4: D9FE0040 54000004
	ds_read_b128 v[88:91], v4 offset:128                       // 000000009FCC: D9FE0080 58000004
	ds_read_b128 v[92:95], v4 offset:192                       // 000000009FD4: D9FE00C0 5C000004
	v_mov_b32_e32 v176, 0                                      // 000000009FDC: 7F600280
	v_mov_b32_e32 v177, 0                                      // 000000009FE0: 7F620280
	v_mov_b32_e32 v178, 0                                      // 000000009FE4: 7F640280
	v_mov_b32_e32 v179, 0                                      // 000000009FE8: 7F660280
	v_mov_b32_e32 v180, 0                                      // 000000009FEC: 7F680280
	v_mov_b32_e32 v181, 0                                      // 000000009FF0: 7F6A0280
	v_mov_b32_e32 v182, 0                                      // 000000009FF4: 7F6C0280
	v_mov_b32_e32 v183, 0                                      // 000000009FF8: 7F6E0280
	ds_read_b128 v[96:99], v4 offset:4224                      // 000000009FFC: D9FE1080 60000004
	ds_read_b128 v[100:103], v4 offset:4288                    // 00000000A004: D9FE10C0 64000004
	ds_read_b128 v[104:107], v4 offset:4352                    // 00000000A00C: D9FE1100 68000004
	ds_read_b128 v[108:111], v4 offset:4416                    // 00000000A014: D9FE1140 6C000004
	v_mov_b32_e32 v184, 0                                      // 00000000A01C: 7F700280
	v_mov_b32_e32 v185, 0                                      // 00000000A020: 7F720280
	v_mov_b32_e32 v186, 0                                      // 00000000A024: 7F740280
	v_mov_b32_e32 v187, 0                                      // 00000000A028: 7F760280
	v_mov_b32_e32 v188, 0                                      // 00000000A02C: 7F780280
	v_mov_b32_e32 v189, 0                                      // 00000000A030: 7F7A0280
	v_mov_b32_e32 v190, 0                                      // 00000000A034: 7F7C0280
	v_mov_b32_e32 v191, 0                                      // 00000000A038: 7F7E0280
	s_waitcnt vmcnt(16) lgkmcnt(0)                             // 00000000A03C: BF8C4070
	s_barrier                                                  // 00000000A040: BF8A0000
	v_mul_u32_u24_dpp v39, v18, v54 row_newbcast:0 row_mask:0xf bank_mask:0xf// 00000000A044: 104E6CFA FF015012
	v_mul_u32_u24_dpp v40, v18, v54 row_newbcast:4 row_mask:0xf bank_mask:0xf// 00000000A04C: 10506CFA FF015412
	v_mul_u32_u24_dpp v41, v18, v54 row_newbcast:8 row_mask:0xf bank_mask:0xf// 00000000A054: 10526CFA FF015812
	v_mul_u32_u24_dpp v42, v18, v54 row_newbcast:12 row_mask:0xf bank_mask:0xf// 00000000A05C: 10546CFA FF015C12
	v_add_u32_e32 v27, v39, v6                                 // 00000000A064: 68360D27
	v_add_u32_e32 v28, v40, v6                                 // 00000000A068: 68380D28
	v_add_u32_e32 v29, v41, v6                                 // 00000000A06C: 683A0D29
	v_add_u32_e32 v30, v42, v6                                 // 00000000A070: 683C0D2A
	v_mul_u32_u24_dpp v39, v18, v54 row_newbcast:1 row_mask:0xf bank_mask:0xf// 00000000A074: 104E6CFA FF015112
	v_mul_u32_u24_dpp v40, v18, v54 row_newbcast:2 row_mask:0xf bank_mask:0xf// 00000000A07C: 10506CFA FF015212
	v_mul_u32_u24_dpp v41, v18, v54 row_newbcast:5 row_mask:0xf bank_mask:0xf// 00000000A084: 10526CFA FF015512
	v_mul_u32_u24_dpp v42, v18, v54 row_newbcast:6 row_mask:0xf bank_mask:0xf// 00000000A08C: 10546CFA FF015612
	v_add_u32_e32 v200, v39, v7                                // 00000000A094: 69900F27
	v_add_u32_e32 v201, v40, v7                                // 00000000A098: 69920F28
	v_add_u32_e32 v202, v41, v7                                // 00000000A09C: 69940F29
	v_add_u32_e32 v203, v42, v7                                // 00000000A0A0: 69960F2A
	v_mul_u32_u24_dpp v39, v18, v54 row_newbcast:9 row_mask:0xf bank_mask:0xf// 00000000A0A4: 104E6CFA FF015912
	v_mul_u32_u24_dpp v40, v18, v54 row_newbcast:10 row_mask:0xf bank_mask:0xf// 00000000A0AC: 10506CFA FF015A12
	v_mul_u32_u24_dpp v41, v18, v54 row_newbcast:13 row_mask:0xf bank_mask:0xf// 00000000A0B4: 10526CFA FF015D12
	v_mul_u32_u24_dpp v42, v18, v54 row_newbcast:7 row_mask:0xf bank_mask:0xf// 00000000A0BC: 10546CFA FF015712
	v_add_u32_e32 v204, v39, v7                                // 00000000A0C4: 69980F27
	v_add_u32_e32 v205, v40, v7                                // 00000000A0C8: 699A0F28
	v_add_u32_e32 v206, v41, v7                                // 00000000A0CC: 699C0F29
	v_add_u32_e32 v207, v42, v7                                // 00000000A0D0: 699E0F2A
	s_cmp_lt_u32 s73, 16                                       // 00000000A0D4: BF0A9049
	s_cbranch_scc1 label_302E                                  // 00000000A0D8: BF851076
	s_cmp_lt_i32 s7, 2                                         // 00000000A0DC: BF048207
	s_cbranch_scc0 label_27F4                                  // 00000000A0E0: BF84083A

000000000000a0e4 <label_1FBA>:
	s_waitcnt vmcnt(16) lgkmcnt(0)                             // 00000000A0E4: BF8C4070
	v_mfma_f32_16x16x16_f16 v[112:115], a[0:1], v[80:81], 0    // 00000000A0E8: D3CD0070 0A02A100
	v_mfma_f32_16x16x16_f16 v[112:115], a[2:3], v[82:83], v[112:115]// 00000000A0F0: D3CD0070 0DC2A502
	buffer_load_dwordx4 a[64:67], v27, s[16:19], 0 offen       // 00000000A0F8: E05C1000 8084401B
	v_mfma_f32_16x16x16_f16 v[112:115], a[4:5], v[84:85], v[112:115]// 00000000A100: D3CD0070 0DC2A904
	v_mfma_f32_16x16x16_f16 v[112:115], a[6:7], v[86:87], v[112:115]// 00000000A108: D3CD0070 0DC2AD06
	buffer_load_dword v17, v1, s[24:27], 0 offen               // 00000000A110: E0501000 80061101
	v_mfma_f32_16x16x16_f16 v[112:115], a[8:9], v[88:89], v[112:115]// 00000000A118: D3CD0070 0DC2B108
	v_mfma_f32_16x16x16_f16 v[112:115], a[10:11], v[90:91], v[112:115]// 00000000A120: D3CD0070 0DC2B50A
	buffer_load_dwordx4 a[68:71], v27, s[16:19], 0 offen offset:1024// 00000000A128: E05C1400 8084441B
	v_mfma_f32_16x16x16_f16 v[112:115], a[12:13], v[92:93], v[112:115]// 00000000A130: D3CD0070 0DC2B90C
	v_mfma_f32_16x16x16_f16 v[112:115], a[14:15], v[94:95], v[112:115]// 00000000A138: D3CD0070 0DC2BD0E
	v_mfma_f32_16x16x16_f16 v[116:119], a[16:17], v[80:81], 0  // 00000000A140: D3CD0074 0A02A110
	v_mfma_f32_16x16x16_f16 v[116:119], a[18:19], v[82:83], v[116:119]// 00000000A148: D3CD0074 0DD2A512
	buffer_load_dwordx4 a[72:75], v27, s[16:19], 0 offen offset:2048// 00000000A150: E05C1800 8084481B
	v_mfma_f32_16x16x16_f16 v[116:119], a[20:21], v[84:85], v[116:119]// 00000000A158: D3CD0074 0DD2A914
	v_mfma_f32_16x16x16_f16 v[116:119], a[22:23], v[86:87], v[116:119]// 00000000A160: D3CD0074 0DD2AD16
	v_mfma_f32_16x16x16_f16 v[116:119], a[24:25], v[88:89], v[116:119]// 00000000A168: D3CD0074 0DD2B118
	v_mfma_f32_16x16x16_f16 v[116:119], a[26:27], v[90:91], v[116:119]// 00000000A170: D3CD0074 0DD2B51A
	buffer_load_dwordx4 a[76:79], v27, s[16:19], 0 offen offset:3072// 00000000A178: E05C1C00 80844C1B
	v_mfma_f32_16x16x16_f16 v[116:119], a[28:29], v[92:93], v[116:119]// 00000000A180: D3CD0074 0DD2B91C
	v_mfma_f32_16x16x16_f16 v[116:119], a[30:31], v[94:95], v[116:119]// 00000000A188: D3CD0074 0DD2BD1E
	v_mfma_f32_16x16x16_f16 v[120:123], a[32:33], v[80:81], 0  // 00000000A190: D3CD0078 0A02A120
	v_mfma_f32_16x16x16_f16 v[120:123], a[34:35], v[82:83], v[120:123]// 00000000A198: D3CD0078 0DE2A522
	buffer_load_dwordx4 a[80:83], v28, s[16:19], 0 offen       // 00000000A1A0: E05C1000 8084501C
	v_mfma_f32_16x16x16_f16 v[120:123], a[36:37], v[84:85], v[120:123]// 00000000A1A8: D3CD0078 0DE2A924
	v_mfma_f32_16x16x16_f16 v[120:123], a[38:39], v[86:87], v[120:123]// 00000000A1B0: D3CD0078 0DE2AD26
	v_mfma_f32_16x16x16_f16 v[120:123], a[40:41], v[88:89], v[120:123]// 00000000A1B8: D3CD0078 0DE2B128
	v_mfma_f32_16x16x16_f16 v[120:123], a[42:43], v[90:91], v[120:123]// 00000000A1C0: D3CD0078 0DE2B52A
	buffer_load_dwordx4 a[84:87], v28, s[16:19], 0 offen offset:1024// 00000000A1C8: E05C1400 8084541C
	v_mfma_f32_16x16x16_f16 v[120:123], a[44:45], v[92:93], v[120:123]// 00000000A1D0: D3CD0078 0DE2B92C
	v_mfma_f32_16x16x16_f16 v[120:123], a[46:47], v[94:95], v[120:123]// 00000000A1D8: D3CD0078 0DE2BD2E
	v_mfma_f32_16x16x16_f16 v[124:127], a[48:49], v[80:81], 0  // 00000000A1E0: D3CD007C 0A02A130
	v_mfma_f32_16x16x16_f16 v[124:127], a[50:51], v[82:83], v[124:127]// 00000000A1E8: D3CD007C 0DF2A532
	buffer_load_dwordx4 a[88:91], v28, s[16:19], 0 offen offset:2048// 00000000A1F0: E05C1800 8084581C
	v_mfma_f32_16x16x16_f16 v[124:127], a[52:53], v[84:85], v[124:127]// 00000000A1F8: D3CD007C 0DF2A934
	v_mfma_f32_16x16x16_f16 v[124:127], a[54:55], v[86:87], v[124:127]// 00000000A200: D3CD007C 0DF2AD36
	v_mfma_f32_16x16x16_f16 v[124:127], a[56:57], v[88:89], v[124:127]// 00000000A208: D3CD007C 0DF2B138
	v_mfma_f32_16x16x16_f16 v[124:127], a[58:59], v[90:91], v[124:127]// 00000000A210: D3CD007C 0DF2B53A
	buffer_load_dwordx4 a[92:95], v28, s[16:19], 0 offen offset:3072// 00000000A218: E05C1C00 80845C1C
	v_mfma_f32_16x16x16_f16 v[124:127], a[60:61], v[92:93], v[124:127]// 00000000A220: D3CD007C 0DF2B93C
	v_mfma_f32_16x16x16_f16 v[124:127], a[62:63], v[94:95], v[124:127]// 00000000A228: D3CD007C 0DF2BD3E
	s_cmp_le_i32 s90, s89                                      // 00000000A230: BF05595A
	s_cbranch_scc1 label_2082                                  // 00000000A234: BF850073
	v_mov_b32_e32 v55, 0xff800000                              // 00000000A238: 7E6E02FF FF800000
	s_mov_b32 s60, s90                                         // 00000000A240: BEBC005A
	s_add_u32 s61, s89, 0xff                                   // 00000000A244: 803DFF59 000000FF
	v_mov_b32_e32 v39, s61                                     // 00000000A24C: 7E4E023D
	v_lshrrev_b32_e32 v31, 4, v0                               // 00000000A250: 203E0084
	v_mul_i32_i24_e32 v31, 4, v31                              // 00000000A254: 0C3E3E84
	v_add_u32_e32 v31, s60, v31                                // 00000000A258: 683E3E3C
	v_and_b32_e32 v40, 15, v0                                  // 00000000A25C: 2650008F
	v_lshrrev_b32_e32 v40, 3, v40                              // 00000000A260: 20505083
	s_mov_b32 s61, 0                                           // 00000000A264: BEBD0080
	s_mul_i32 s60, 16, s7                                      // 00000000A268: 923C0790
	v_add_u32_e32 v40, s61, v40                                // 00000000A26C: 6850503D
	v_sub_u32_e32 v31, v31, v40                                // 00000000A270: 6A3E511F
	v_add_u32_e32 v31, s60, v31                                // 00000000A274: 683E3E3C
	v_add_u32_e32 v32, 1, v31                                  // 00000000A278: 68403E81
	v_add_u32_e32 v33, 2, v31                                  // 00000000A27C: 68423E82
	v_add_u32_e32 v34, 3, v31                                  // 00000000A280: 68443E83
	v_cmp_le_u32_e64 s[40:41], v31, v39                        // 00000000A284: D0CB0028 00024F1F
	v_add_u32_e32 v31, 64, v31                                 // 00000000A28C: 683E3EC0
	s_nop 0                                                    // 00000000A290: BF800000
	v_cndmask_b32_e64 v112, v55, v112, s[40:41]                // 00000000A294: D1000070 00A2E137
	v_cmp_le_u32_e64 s[40:41], v32, v39                        // 00000000A29C: D0CB0028 00024F20
	v_add_u32_e32 v32, 64, v32                                 // 00000000A2A4: 684040C0
	s_nop 0                                                    // 00000000A2A8: BF800000
	v_cndmask_b32_e64 v113, v55, v113, s[40:41]                // 00000000A2AC: D1000071 00A2E337
	v_cmp_le_u32_e64 s[40:41], v33, v39                        // 00000000A2B4: D0CB0028 00024F21
	v_add_u32_e32 v33, 64, v33                                 // 00000000A2BC: 684242C0
	s_nop 0                                                    // 00000000A2C0: BF800000
	v_cndmask_b32_e64 v114, v55, v114, s[40:41]                // 00000000A2C4: D1000072 00A2E537
	v_cmp_le_u32_e64 s[40:41], v34, v39                        // 00000000A2CC: D0CB0028 00024F22
	v_add_u32_e32 v34, 64, v34                                 // 00000000A2D4: 684444C0
	s_nop 0                                                    // 00000000A2D8: BF800000
	v_cndmask_b32_e64 v115, v55, v115, s[40:41]                // 00000000A2DC: D1000073 00A2E737
	v_cmp_le_u32_e64 s[40:41], v31, v39                        // 00000000A2E4: D0CB0028 00024F1F
	v_add_u32_e32 v31, 64, v31                                 // 00000000A2EC: 683E3EC0
	s_nop 0                                                    // 00000000A2F0: BF800000
	v_cndmask_b32_e64 v116, v55, v116, s[40:41]                // 00000000A2F4: D1000074 00A2E937
	v_cmp_le_u32_e64 s[40:41], v32, v39                        // 00000000A2FC: D0CB0028 00024F20
	v_add_u32_e32 v32, 64, v32                                 // 00000000A304: 684040C0
	s_nop 0                                                    // 00000000A308: BF800000
	v_cndmask_b32_e64 v117, v55, v117, s[40:41]                // 00000000A30C: D1000075 00A2EB37
	v_cmp_le_u32_e64 s[40:41], v33, v39                        // 00000000A314: D0CB0028 00024F21
	v_add_u32_e32 v33, 64, v33                                 // 00000000A31C: 684242C0
	s_nop 0                                                    // 00000000A320: BF800000
	v_cndmask_b32_e64 v118, v55, v118, s[40:41]                // 00000000A324: D1000076 00A2ED37
	v_cmp_le_u32_e64 s[40:41], v34, v39                        // 00000000A32C: D0CB0028 00024F22
	v_add_u32_e32 v34, 64, v34                                 // 00000000A334: 684444C0
	s_nop 0                                                    // 00000000A338: BF800000
	v_cndmask_b32_e64 v119, v55, v119, s[40:41]                // 00000000A33C: D1000077 00A2EF37
	v_cmp_le_u32_e64 s[40:41], v31, v39                        // 00000000A344: D0CB0028 00024F1F
	v_add_u32_e32 v31, 64, v31                                 // 00000000A34C: 683E3EC0
	s_nop 0                                                    // 00000000A350: BF800000
	v_cndmask_b32_e64 v120, v55, v120, s[40:41]                // 00000000A354: D1000078 00A2F137
	v_cmp_le_u32_e64 s[40:41], v32, v39                        // 00000000A35C: D0CB0028 00024F20
	v_add_u32_e32 v32, 64, v32                                 // 00000000A364: 684040C0
	s_nop 0                                                    // 00000000A368: BF800000
	v_cndmask_b32_e64 v121, v55, v121, s[40:41]                // 00000000A36C: D1000079 00A2F337
	v_cmp_le_u32_e64 s[40:41], v33, v39                        // 00000000A374: D0CB0028 00024F21
	v_add_u32_e32 v33, 64, v33                                 // 00000000A37C: 684242C0
	s_nop 0                                                    // 00000000A380: BF800000
	v_cndmask_b32_e64 v122, v55, v122, s[40:41]                // 00000000A384: D100007A 00A2F537
	v_cmp_le_u32_e64 s[40:41], v34, v39                        // 00000000A38C: D0CB0028 00024F22
	v_add_u32_e32 v34, 64, v34                                 // 00000000A394: 684444C0
	s_nop 0                                                    // 00000000A398: BF800000
	v_cndmask_b32_e64 v123, v55, v123, s[40:41]                // 00000000A39C: D100007B 00A2F737
	v_cmp_le_u32_e64 s[40:41], v31, v39                        // 00000000A3A4: D0CB0028 00024F1F
	v_add_u32_e32 v31, 64, v31                                 // 00000000A3AC: 683E3EC0
	s_nop 0                                                    // 00000000A3B0: BF800000
	v_cndmask_b32_e64 v124, v55, v124, s[40:41]                // 00000000A3B4: D100007C 00A2F937
	v_cmp_le_u32_e64 s[40:41], v32, v39                        // 00000000A3BC: D0CB0028 00024F20
	v_add_u32_e32 v32, 64, v32                                 // 00000000A3C4: 684040C0
	s_nop 0                                                    // 00000000A3C8: BF800000
	v_cndmask_b32_e64 v125, v55, v125, s[40:41]                // 00000000A3CC: D100007D 00A2FB37
	v_cmp_le_u32_e64 s[40:41], v33, v39                        // 00000000A3D4: D0CB0028 00024F21
	v_add_u32_e32 v33, 64, v33                                 // 00000000A3DC: 684242C0
	s_nop 0                                                    // 00000000A3E0: BF800000
	v_cndmask_b32_e64 v126, v55, v126, s[40:41]                // 00000000A3E4: D100007E 00A2FD37
	v_cmp_le_u32_e64 s[40:41], v34, v39                        // 00000000A3EC: D0CB0028 00024F22
	v_add_u32_e32 v34, 64, v34                                 // 00000000A3F4: 684444C0
	s_nop 0                                                    // 00000000A3F8: BF800000
	v_cndmask_b32_e64 v127, v55, v127, s[40:41]                // 00000000A3FC: D100007F 00A2FF37

000000000000a404 <label_2082>:
	s_waitcnt vmcnt(16) lgkmcnt(0)                             // 00000000A404: BF8C4070
	v_mfma_f32_16x16x16_f16 v[144:147], a[0:1], v[96:97], 0    // 00000000A408: D3CD0090 0A02C100
	v_mfma_f32_16x16x16_f16 v[144:147], a[2:3], v[98:99], v[144:147]// 00000000A410: D3CD0090 0E42C502
	v_mfma_f32_16x16x16_f16 v[144:147], a[4:5], v[100:101], v[144:147]// 00000000A418: D3CD0090 0E42C904
	v_mfma_f32_16x16x16_f16 v[144:147], a[6:7], v[102:103], v[144:147]// 00000000A420: D3CD0090 0E42CD06
	v_mfma_f32_16x16x16_f16 v[144:147], a[8:9], v[104:105], v[144:147]// 00000000A428: D3CD0090 0E42D108
	v_mfma_f32_16x16x16_f16 v[144:147], a[10:11], v[106:107], v[144:147]// 00000000A430: D3CD0090 0E42D50A
	v_mfma_f32_16x16x16_f16 v[144:147], a[12:13], v[108:109], v[144:147]// 00000000A438: D3CD0090 0E42D90C
	v_mfma_f32_16x16x16_f16 v[144:147], a[14:15], v[110:111], v[144:147]// 00000000A440: D3CD0090 0E42DD0E
	v_mfma_f32_16x16x16_f16 v[148:151], a[16:17], v[96:97], 0  // 00000000A448: D3CD0094 0A02C110
	v_mfma_f32_16x16x16_f16 v[148:151], a[18:19], v[98:99], v[148:151]// 00000000A450: D3CD0094 0E52C512
	v_mfma_f32_16x16x16_f16 v[148:151], a[20:21], v[100:101], v[148:151]// 00000000A458: D3CD0094 0E52C914
	v_mfma_f32_16x16x16_f16 v[148:151], a[22:23], v[102:103], v[148:151]// 00000000A460: D3CD0094 0E52CD16
	v_mfma_f32_16x16x16_f16 v[148:151], a[24:25], v[104:105], v[148:151]// 00000000A468: D3CD0094 0E52D118
	v_mfma_f32_16x16x16_f16 v[148:151], a[26:27], v[106:107], v[148:151]// 00000000A470: D3CD0094 0E52D51A
	v_mfma_f32_16x16x16_f16 v[148:151], a[28:29], v[108:109], v[148:151]// 00000000A478: D3CD0094 0E52D91C
	v_mfma_f32_16x16x16_f16 v[148:151], a[30:31], v[110:111], v[148:151]// 00000000A480: D3CD0094 0E52DD1E
	v_mfma_f32_16x16x16_f16 v[152:155], a[32:33], v[96:97], 0  // 00000000A488: D3CD0098 0A02C120
	v_mfma_f32_16x16x16_f16 v[152:155], a[34:35], v[98:99], v[152:155]// 00000000A490: D3CD0098 0E62C522
	v_mfma_f32_16x16x16_f16 v[152:155], a[36:37], v[100:101], v[152:155]// 00000000A498: D3CD0098 0E62C924
	v_mfma_f32_16x16x16_f16 v[152:155], a[38:39], v[102:103], v[152:155]// 00000000A4A0: D3CD0098 0E62CD26
	v_mfma_f32_16x16x16_f16 v[152:155], a[40:41], v[104:105], v[152:155]// 00000000A4A8: D3CD0098 0E62D128
	v_mfma_f32_16x16x16_f16 v[152:155], a[42:43], v[106:107], v[152:155]// 00000000A4B0: D3CD0098 0E62D52A
	v_mfma_f32_16x16x16_f16 v[152:155], a[44:45], v[108:109], v[152:155]// 00000000A4B8: D3CD0098 0E62D92C
	v_mfma_f32_16x16x16_f16 v[152:155], a[46:47], v[110:111], v[152:155]// 00000000A4C0: D3CD0098 0E62DD2E
	v_mfma_f32_16x16x16_f16 v[156:159], a[48:49], v[96:97], 0  // 00000000A4C8: D3CD009C 0A02C130
	v_mfma_f32_16x16x16_f16 v[156:159], a[50:51], v[98:99], v[156:159]// 00000000A4D0: D3CD009C 0E72C532
	v_mfma_f32_16x16x16_f16 v[156:159], a[52:53], v[100:101], v[156:159]// 00000000A4D8: D3CD009C 0E72C934
	v_mfma_f32_16x16x16_f16 v[156:159], a[54:55], v[102:103], v[156:159]// 00000000A4E0: D3CD009C 0E72CD36
	v_mfma_f32_16x16x16_f16 v[156:159], a[56:57], v[104:105], v[156:159]// 00000000A4E8: D3CD009C 0E72D138
	v_mfma_f32_16x16x16_f16 v[156:159], a[58:59], v[106:107], v[156:159]// 00000000A4F0: D3CD009C 0E72D53A
	v_mfma_f32_16x16x16_f16 v[156:159], a[60:61], v[108:109], v[156:159]// 00000000A4F8: D3CD009C 0E72D93C
	v_mfma_f32_16x16x16_f16 v[156:159], a[62:63], v[110:111], v[156:159]// 00000000A500: D3CD009C 0E72DD3E
	s_cmp_le_i32 s90, s89                                      // 00000000A508: BF05595A
	s_cbranch_scc1 label_2138                                  // 00000000A50C: BF850073
	v_mov_b32_e32 v55, 0xff800000                              // 00000000A510: 7E6E02FF FF800000
	s_mov_b32 s60, s90                                         // 00000000A518: BEBC005A
	s_add_u32 s61, s89, 0xff                                   // 00000000A51C: 803DFF59 000000FF
	v_mov_b32_e32 v39, s61                                     // 00000000A524: 7E4E023D
	v_lshrrev_b32_e32 v31, 4, v0                               // 00000000A528: 203E0084
	v_mul_i32_i24_e32 v31, 4, v31                              // 00000000A52C: 0C3E3E84
	v_add_u32_e32 v31, s60, v31                                // 00000000A530: 683E3E3C
	v_and_b32_e32 v40, 15, v0                                  // 00000000A534: 2650008F
	v_lshrrev_b32_e32 v40, 3, v40                              // 00000000A538: 20505083
	s_mov_b32 s61, 2                                           // 00000000A53C: BEBD0082
	s_mul_i32 s60, 16, s7                                      // 00000000A540: 923C0790
	v_add_u32_e32 v40, s61, v40                                // 00000000A544: 6850503D
	v_sub_u32_e32 v31, v31, v40                                // 00000000A548: 6A3E511F
	v_add_u32_e32 v31, s60, v31                                // 00000000A54C: 683E3E3C
	v_add_u32_e32 v32, 1, v31                                  // 00000000A550: 68403E81
	v_add_u32_e32 v33, 2, v31                                  // 00000000A554: 68423E82
	v_add_u32_e32 v34, 3, v31                                  // 00000000A558: 68443E83
	v_cmp_le_u32_e64 s[40:41], v31, v39                        // 00000000A55C: D0CB0028 00024F1F
	v_add_u32_e32 v31, 64, v31                                 // 00000000A564: 683E3EC0
	s_nop 0                                                    // 00000000A568: BF800000
	v_cndmask_b32_e64 v144, v55, v144, s[40:41]                // 00000000A56C: D1000090 00A32137
	v_cmp_le_u32_e64 s[40:41], v32, v39                        // 00000000A574: D0CB0028 00024F20
	v_add_u32_e32 v32, 64, v32                                 // 00000000A57C: 684040C0
	s_nop 0                                                    // 00000000A580: BF800000
	v_cndmask_b32_e64 v145, v55, v145, s[40:41]                // 00000000A584: D1000091 00A32337
	v_cmp_le_u32_e64 s[40:41], v33, v39                        // 00000000A58C: D0CB0028 00024F21
	v_add_u32_e32 v33, 64, v33                                 // 00000000A594: 684242C0
	s_nop 0                                                    // 00000000A598: BF800000
	v_cndmask_b32_e64 v146, v55, v146, s[40:41]                // 00000000A59C: D1000092 00A32537
	v_cmp_le_u32_e64 s[40:41], v34, v39                        // 00000000A5A4: D0CB0028 00024F22
	v_add_u32_e32 v34, 64, v34                                 // 00000000A5AC: 684444C0
	s_nop 0                                                    // 00000000A5B0: BF800000
	v_cndmask_b32_e64 v147, v55, v147, s[40:41]                // 00000000A5B4: D1000093 00A32737
	v_cmp_le_u32_e64 s[40:41], v31, v39                        // 00000000A5BC: D0CB0028 00024F1F
	v_add_u32_e32 v31, 64, v31                                 // 00000000A5C4: 683E3EC0
	s_nop 0                                                    // 00000000A5C8: BF800000
	v_cndmask_b32_e64 v148, v55, v148, s[40:41]                // 00000000A5CC: D1000094 00A32937
	v_cmp_le_u32_e64 s[40:41], v32, v39                        // 00000000A5D4: D0CB0028 00024F20
	v_add_u32_e32 v32, 64, v32                                 // 00000000A5DC: 684040C0
	s_nop 0                                                    // 00000000A5E0: BF800000
	v_cndmask_b32_e64 v149, v55, v149, s[40:41]                // 00000000A5E4: D1000095 00A32B37
	v_cmp_le_u32_e64 s[40:41], v33, v39                        // 00000000A5EC: D0CB0028 00024F21
	v_add_u32_e32 v33, 64, v33                                 // 00000000A5F4: 684242C0
	s_nop 0                                                    // 00000000A5F8: BF800000
	v_cndmask_b32_e64 v150, v55, v150, s[40:41]                // 00000000A5FC: D1000096 00A32D37
	v_cmp_le_u32_e64 s[40:41], v34, v39                        // 00000000A604: D0CB0028 00024F22
	v_add_u32_e32 v34, 64, v34                                 // 00000000A60C: 684444C0
	s_nop 0                                                    // 00000000A610: BF800000
	v_cndmask_b32_e64 v151, v55, v151, s[40:41]                // 00000000A614: D1000097 00A32F37
	v_cmp_le_u32_e64 s[40:41], v31, v39                        // 00000000A61C: D0CB0028 00024F1F
	v_add_u32_e32 v31, 64, v31                                 // 00000000A624: 683E3EC0
	s_nop 0                                                    // 00000000A628: BF800000
	v_cndmask_b32_e64 v152, v55, v152, s[40:41]                // 00000000A62C: D1000098 00A33137
	v_cmp_le_u32_e64 s[40:41], v32, v39                        // 00000000A634: D0CB0028 00024F20
	v_add_u32_e32 v32, 64, v32                                 // 00000000A63C: 684040C0
	s_nop 0                                                    // 00000000A640: BF800000
	v_cndmask_b32_e64 v153, v55, v153, s[40:41]                // 00000000A644: D1000099 00A33337
	v_cmp_le_u32_e64 s[40:41], v33, v39                        // 00000000A64C: D0CB0028 00024F21
	v_add_u32_e32 v33, 64, v33                                 // 00000000A654: 684242C0
	s_nop 0                                                    // 00000000A658: BF800000
	v_cndmask_b32_e64 v154, v55, v154, s[40:41]                // 00000000A65C: D100009A 00A33537
	v_cmp_le_u32_e64 s[40:41], v34, v39                        // 00000000A664: D0CB0028 00024F22
	v_add_u32_e32 v34, 64, v34                                 // 00000000A66C: 684444C0
	s_nop 0                                                    // 00000000A670: BF800000
	v_cndmask_b32_e64 v155, v55, v155, s[40:41]                // 00000000A674: D100009B 00A33737
	v_cmp_le_u32_e64 s[40:41], v31, v39                        // 00000000A67C: D0CB0028 00024F1F
	v_add_u32_e32 v31, 64, v31                                 // 00000000A684: 683E3EC0
	s_nop 0                                                    // 00000000A688: BF800000
	v_cndmask_b32_e64 v156, v55, v156, s[40:41]                // 00000000A68C: D100009C 00A33937
	v_cmp_le_u32_e64 s[40:41], v32, v39                        // 00000000A694: D0CB0028 00024F20
	v_add_u32_e32 v32, 64, v32                                 // 00000000A69C: 684040C0
	s_nop 0                                                    // 00000000A6A0: BF800000
	v_cndmask_b32_e64 v157, v55, v157, s[40:41]                // 00000000A6A4: D100009D 00A33B37
	v_cmp_le_u32_e64 s[40:41], v33, v39                        // 00000000A6AC: D0CB0028 00024F21
	v_add_u32_e32 v33, 64, v33                                 // 00000000A6B4: 684242C0
	s_nop 0                                                    // 00000000A6B8: BF800000
	v_cndmask_b32_e64 v158, v55, v158, s[40:41]                // 00000000A6BC: D100009E 00A33D37
	v_cmp_le_u32_e64 s[40:41], v34, v39                        // 00000000A6C4: D0CB0028 00024F22
	v_add_u32_e32 v34, 64, v34                                 // 00000000A6CC: 684444C0
	s_nop 0                                                    // 00000000A6D0: BF800000
	v_cndmask_b32_e64 v159, v55, v159, s[40:41]                // 00000000A6D4: D100009F 00A33F37

000000000000a6dc <label_2138>:
	s_add_u32 s90, s91, s90                                    // 00000000A6DC: 805A5A5B
	s_nop 0                                                    // 00000000A6E0: BF800000
	buffer_load_dwordx4 a[96:99], v29, s[16:19], 0 offen       // 00000000A6E4: E05C1000 8084601D
	s_nop 8                                                    // 00000000A6EC: BF800008
	buffer_load_dwordx4 a[100:103], v29, s[16:19], 0 offen offset:1024// 00000000A6F0: E05C1400 8084641D
	v_mov_b32_e32 v50, v112                                    // 00000000A6F8: 7E640370
	v_max3_f32 v50, v112, v113, v50                            // 00000000A6FC: D1D30032 04CAE370
	v_max3_f32 v50, v114, v115, v50                            // 00000000A704: D1D30032 04CAE772
	v_max3_f32 v50, v116, v117, v50                            // 00000000A70C: D1D30032 04CAEB74
	v_max3_f32 v50, v118, v119, v50                            // 00000000A714: D1D30032 04CAEF76
	v_max3_f32 v50, v120, v121, v50                            // 00000000A71C: D1D30032 04CAF378
	v_max3_f32 v50, v122, v123, v50                            // 00000000A724: D1D30032 04CAF77A
	v_max3_f32 v50, v124, v125, v50                            // 00000000A72C: D1D30032 04CAFB7C
	v_max3_f32 v50, v126, v127, v50                            // 00000000A734: D1D30032 04CAFF7E
	ds_write_b32 v11, v50                                      // 00000000A73C: D81A0000 0000320B
	buffer_load_dwordx4 a[104:107], v29, s[16:19], 0 offen offset:2048// 00000000A744: E05C1800 8084681D
	s_waitcnt lgkmcnt(0)                                       // 00000000A74C: BF8CC07F
	s_barrier                                                  // 00000000A750: BF8A0000
	ds_read_b32 v64, v10                                       // 00000000A754: D86C0000 4000000A
	buffer_load_dwordx4 a[108:111], v29, s[16:19], 0 offen offset:3072// 00000000A75C: E05C1C00 80846C1D
	ds_read_b32 v65, v10 offset:64                             // 00000000A764: D86C0040 4100000A
	ds_read_b32 v66, v10 offset:128                            // 00000000A76C: D86C0080 4200000A
	ds_read_b32 v67, v10 offset:192                            // 00000000A774: D86C00C0 4300000A
	ds_read_b32 v68, v10 offset:256                            // 00000000A77C: D86C0100 4400000A
	ds_read_b32 v69, v10 offset:320                            // 00000000A784: D86C0140 4500000A
	ds_read_b32 v70, v10 offset:384                            // 00000000A78C: D86C0180 4600000A
	ds_read_b32 v71, v10 offset:448                            // 00000000A794: D86C01C0 4700000A
	ds_read_b32 v72, v10 offset:512                            // 00000000A79C: D86C0200 4800000A
	buffer_load_dwordx4 a[112:115], v30, s[16:19], 0 offen     // 00000000A7A4: E05C1000 8084701E
	ds_read_b32 v73, v10 offset:576                            // 00000000A7AC: D86C0240 4900000A
	ds_read_b32 v74, v10 offset:640                            // 00000000A7B4: D86C0280 4A00000A
	ds_read_b32 v75, v10 offset:704                            // 00000000A7BC: D86C02C0 4B00000A
	ds_read_b32 v76, v10 offset:768                            // 00000000A7C4: D86C0300 4C00000A
	ds_read_b32 v77, v10 offset:832                            // 00000000A7CC: D86C0340 4D00000A
	ds_read_b32 v78, v10 offset:896                            // 00000000A7D4: D86C0380 4E00000A
	ds_read_b32 v79, v10 offset:960                            // 00000000A7DC: D86C03C0 4F00000A
	buffer_load_dwordx4 a[116:119], v30, s[16:19], 0 offen offset:1024// 00000000A7E4: E05C1400 8084741E
	buffer_load_dwordx4 a[120:123], v30, s[16:19], 0 offen offset:2048// 00000000A7EC: E05C1800 8084781E
	s_waitcnt lgkmcnt(0)                                       // 00000000A7F4: BF8CC07F
	v_max3_f32 v50, v64, v65, v50                              // 00000000A7F8: D1D30032 04CA8340
	v_max3_f32 v50, v66, v67, v50                              // 00000000A800: D1D30032 04CA8742
	v_max3_f32 v50, v68, v69, v50                              // 00000000A808: D1D30032 04CA8B44
	v_max3_f32 v50, v70, v71, v50                              // 00000000A810: D1D30032 04CA8F46
	v_max3_f32 v50, v72, v73, v50                              // 00000000A818: D1D30032 04CA9348
	v_max3_f32 v50, v74, v75, v50                              // 00000000A820: D1D30032 04CA974A
	v_max3_f32 v50, v76, v77, v50                              // 00000000A828: D1D30032 04CA9B4C
	v_max3_f32 v50, v78, v79, v50                              // 00000000A830: D1D30032 04CA9F4E
	buffer_load_dwordx4 a[124:127], v30, s[16:19], 0 offen offset:3072// 00000000A838: E05C1C00 80847C1E
	v_cmp_eq_u32_e64 s[40:41], v55, v14                        // 00000000A840: D0CA0028 00021D37
	s_nop 1                                                    // 00000000A848: BF800001
	v_max_f32_e32 v16, v50, v14                                // 00000000A84C: 16201D32
	v_sub_f32_e32 v51, v14, v16                                // 00000000A850: 0466210E
	v_cndmask_b32_e64 v51, v51, 0, s[40:41]                    // 00000000A854: D1000033 00A10133
	v_mov_b32_e32 v14, v16                                     // 00000000A85C: 7E1C0310
	v_mul_f32_e32 v53, s64, v16                                // 00000000A860: 0A6A2040
	v_mul_f32_e32 v51, s64, v51                                // 00000000A864: 0A666640
	v_exp_f32_e32 v51, v51                                     // 00000000A868: 7E664133
	buffer_load_dwordx4 a[192:195], v200, s[20:23], 0 offen    // 00000000A86C: E05C1000 8085C0C8
	v_fma_f32 v112, v112, s64, -v53                            // 00000000A874: D1CB0070 84D48170
	v_fma_f32 v113, v113, s64, -v53                            // 00000000A87C: D1CB0071 84D48171
	v_fma_f32 v114, v114, s64, -v53                            // 00000000A884: D1CB0072 84D48172
	v_fma_f32 v115, v115, s64, -v53                            // 00000000A88C: D1CB0073 84D48173
	v_fma_f32 v116, v116, s64, -v53                            // 00000000A894: D1CB0074 84D48174
	v_fma_f32 v117, v117, s64, -v53                            // 00000000A89C: D1CB0075 84D48175
	v_fma_f32 v118, v118, s64, -v53                            // 00000000A8A4: D1CB0076 84D48176
	v_fma_f32 v119, v119, s64, -v53                            // 00000000A8AC: D1CB0077 84D48177
	v_fma_f32 v120, v120, s64, -v53                            // 00000000A8B4: D1CB0078 84D48178
	v_fma_f32 v121, v121, s64, -v53                            // 00000000A8BC: D1CB0079 84D48179
	v_fma_f32 v122, v122, s64, -v53                            // 00000000A8C4: D1CB007A 84D4817A
	v_fma_f32 v123, v123, s64, -v53                            // 00000000A8CC: D1CB007B 84D4817B
	v_fma_f32 v124, v124, s64, -v53                            // 00000000A8D4: D1CB007C 84D4817C
	v_fma_f32 v125, v125, s64, -v53                            // 00000000A8DC: D1CB007D 84D4817D
	v_fma_f32 v126, v126, s64, -v53                            // 00000000A8E4: D1CB007E 84D4817E
	v_fma_f32 v127, v127, s64, -v53                            // 00000000A8EC: D1CB007F 84D4817F
	v_exp_f32_e32 v112, v112                                   // 00000000A8F4: 7EE04170
	v_exp_f32_e32 v113, v113                                   // 00000000A8F8: 7EE24171
	v_exp_f32_e32 v114, v114                                   // 00000000A8FC: 7EE44172
	v_exp_f32_e32 v115, v115                                   // 00000000A900: 7EE64173
	v_exp_f32_e32 v116, v116                                   // 00000000A904: 7EE84174
	v_exp_f32_e32 v117, v117                                   // 00000000A908: 7EEA4175
	v_exp_f32_e32 v118, v118                                   // 00000000A90C: 7EEC4176
	v_exp_f32_e32 v119, v119                                   // 00000000A910: 7EEE4177
	v_exp_f32_e32 v120, v120                                   // 00000000A914: 7EF04178
	v_exp_f32_e32 v121, v121                                   // 00000000A918: 7EF24179
	v_exp_f32_e32 v122, v122                                   // 00000000A91C: 7EF4417A
	v_exp_f32_e32 v123, v123                                   // 00000000A920: 7EF6417B
	v_exp_f32_e32 v124, v124                                   // 00000000A924: 7EF8417C
	v_exp_f32_e32 v125, v125                                   // 00000000A928: 7EFA417D
	v_exp_f32_e32 v126, v126                                   // 00000000A92C: 7EFC417E
	v_exp_f32_e32 v127, v127                                   // 00000000A930: 7EFE417F
	buffer_load_dwordx4 a[196:199], v201, s[20:23], 0 offen    // 00000000A934: E05C1000 8085C4C9
	v_mul_f32_e32 v43, v51, v43                                // 00000000A93C: 0A565733
	v_mov_b32_e32 v45, v112                                    // 00000000A940: 7E5A0370
	v_add_f32_e32 v45, v113, v45                               // 00000000A944: 025A5B71
	v_add_f32_e32 v45, v114, v45                               // 00000000A948: 025A5B72
	v_add_f32_e32 v45, v115, v45                               // 00000000A94C: 025A5B73
	v_add_f32_e32 v45, v116, v45                               // 00000000A950: 025A5B74
	v_add_f32_e32 v45, v117, v45                               // 00000000A954: 025A5B75
	v_add_f32_e32 v45, v118, v45                               // 00000000A958: 025A5B76
	v_add_f32_e32 v45, v119, v45                               // 00000000A95C: 025A5B77
	v_add_f32_e32 v45, v120, v45                               // 00000000A960: 025A5B78
	v_add_f32_e32 v45, v121, v45                               // 00000000A964: 025A5B79
	v_add_f32_e32 v45, v122, v45                               // 00000000A968: 025A5B7A
	v_add_f32_e32 v45, v123, v45                               // 00000000A96C: 025A5B7B
	v_add_f32_e32 v45, v124, v45                               // 00000000A970: 025A5B7C
	v_add_f32_e32 v45, v125, v45                               // 00000000A974: 025A5B7D
	v_add_f32_e32 v45, v126, v45                               // 00000000A978: 025A5B7E
	v_add_f32_e32 v45, v127, v45                               // 00000000A97C: 025A5B7F
	v_add_f32_e32 v43, v45, v43                                // 00000000A980: 0256572D
	buffer_load_dwordx4 a[200:203], v202, s[20:23], 0 offen    // 00000000A984: E05C1000 8085C8CA
	v_cvt_pkrtz_f16_f32 v39, v112, v113                        // 00000000A98C: D2960027 0002E370
	v_mov_b32_e32 v112, v39                                    // 00000000A994: 7EE00327
	v_cvt_pkrtz_f16_f32 v39, v114, v115                        // 00000000A998: D2960027 0002E772
	v_mov_b32_e32 v113, v39                                    // 00000000A9A0: 7EE20327
	v_cvt_pkrtz_f16_f32 v39, v116, v117                        // 00000000A9A4: D2960027 0002EB74
	v_mov_b32_e32 v114, v39                                    // 00000000A9AC: 7EE40327
	v_cvt_pkrtz_f16_f32 v39, v118, v119                        // 00000000A9B0: D2960027 0002EF76
	v_mov_b32_e32 v115, v39                                    // 00000000A9B8: 7EE60327
	v_cvt_pkrtz_f16_f32 v39, v120, v121                        // 00000000A9BC: D2960027 0002F378
	v_mov_b32_e32 v116, v39                                    // 00000000A9C4: 7EE80327
	v_cvt_pkrtz_f16_f32 v39, v122, v123                        // 00000000A9C8: D2960027 0002F77A
	v_mov_b32_e32 v117, v39                                    // 00000000A9D0: 7EEA0327
	v_cvt_pkrtz_f16_f32 v39, v124, v125                        // 00000000A9D4: D2960027 0002FB7C
	v_mov_b32_e32 v118, v39                                    // 00000000A9DC: 7EEC0327
	v_cvt_pkrtz_f16_f32 v39, v126, v127                        // 00000000A9E0: D2960027 0002FF7E
	v_mov_b32_e32 v119, v39                                    // 00000000A9E8: 7EEE0327
	buffer_load_dwordx4 a[204:207], v203, s[20:23], 0 offen    // 00000000A9EC: E05C1000 8085CCCB
	buffer_load_dwordx4 a[208:211], v204, s[20:23], 0 offen    // 00000000A9F4: E05C1000 8085D0CC
	ds_write_b64 v13, v[112:113] offset:4096                   // 00000000A9FC: D89A1000 0000700D
	ds_write_b64 v13, v[114:115] offset:6144                   // 00000000AA04: D89A1800 0000720D
	ds_write_b64 v13, v[116:117] offset:8192                   // 00000000AA0C: D89A2000 0000740D
	ds_write_b64 v13, v[118:119] offset:10240                  // 00000000AA14: D89A2800 0000760D
	buffer_load_dwordx4 a[212:215], v205, s[20:23], 0 offen    // 00000000AA1C: E05C1000 8085D4CD
	s_waitcnt lgkmcnt(0)                                       // 00000000AA24: BF8CC07F
	s_barrier                                                  // 00000000AA28: BF8A0000
	ds_read_b64 v[112:113], v12 offset:4096                    // 00000000AA2C: D8EC1000 7000000C
	ds_read_b64 v[114:115], v12 offset:4224                    // 00000000AA34: D8EC1080 7200000C
	ds_read_b64 v[116:117], v12 offset:5120                    // 00000000AA3C: D8EC1400 7400000C
	ds_read_b64 v[118:119], v12 offset:5248                    // 00000000AA44: D8EC1480 7600000C
	ds_read_b64 v[120:121], v12 offset:6144                    // 00000000AA4C: D8EC1800 7800000C
	ds_read_b64 v[122:123], v12 offset:6272                    // 00000000AA54: D8EC1880 7A00000C
	ds_read_b64 v[124:125], v12 offset:7168                    // 00000000AA5C: D8EC1C00 7C00000C
	ds_read_b64 v[126:127], v12 offset:7296                    // 00000000AA64: D8EC1C80 7E00000C
	ds_read_b64 v[128:129], v12 offset:8192                    // 00000000AA6C: D8EC2000 8000000C
	ds_read_b64 v[130:131], v12 offset:8320                    // 00000000AA74: D8EC2080 8200000C
	ds_read_b64 v[132:133], v12 offset:9216                    // 00000000AA7C: D8EC2400 8400000C
	ds_read_b64 v[134:135], v12 offset:9344                    // 00000000AA84: D8EC2480 8600000C
	ds_read_b64 v[136:137], v12 offset:10240                   // 00000000AA8C: D8EC2800 8800000C
	ds_read_b64 v[138:139], v12 offset:10368                   // 00000000AA94: D8EC2880 8A00000C
	ds_read_b64 v[140:141], v12 offset:11264                   // 00000000AA9C: D8EC2C00 8C00000C
	ds_read_b64 v[142:143], v12 offset:11392                   // 00000000AAA4: D8EC2C80 8E00000C
	buffer_load_dwordx4 a[216:219], v206, s[20:23], 0 offen    // 00000000AAAC: E05C1000 8085D8CE
	buffer_load_dwordx4 a[220:223], v207, s[20:23], 0 offen    // 00000000AAB4: E05C1000 8085DCCF
	s_waitcnt lgkmcnt(0)                                       // 00000000AABC: BF8CC07F
	s_nop 8                                                    // 00000000AAC0: BF800008
	v_mov_b32_e32 v50, v144                                    // 00000000AAC4: 7E640390
	v_max3_f32 v50, v144, v145, v50                            // 00000000AAC8: D1D30032 04CB2390
	v_max3_f32 v50, v146, v147, v50                            // 00000000AAD0: D1D30032 04CB2792
	v_max3_f32 v50, v148, v149, v50                            // 00000000AAD8: D1D30032 04CB2B94
	v_max3_f32 v50, v150, v151, v50                            // 00000000AAE0: D1D30032 04CB2F96
	v_max3_f32 v50, v152, v153, v50                            // 00000000AAE8: D1D30032 04CB3398
	v_max3_f32 v50, v154, v155, v50                            // 00000000AAF0: D1D30032 04CB379A
	v_max3_f32 v50, v156, v157, v50                            // 00000000AAF8: D1D30032 04CB3B9C
	v_max3_f32 v50, v158, v159, v50                            // 00000000AB00: D1D30032 04CB3F9E
	ds_write_b32 v11, v50                                      // 00000000AB08: D81A0000 0000320B
	s_waitcnt lgkmcnt(0)                                       // 00000000AB10: BF8CC07F
	s_barrier                                                  // 00000000AB14: BF8A0000
	ds_read_b32 v64, v10                                       // 00000000AB18: D86C0000 4000000A
	ds_read_b32 v65, v10 offset:64                             // 00000000AB20: D86C0040 4100000A
	ds_read_b32 v66, v10 offset:128                            // 00000000AB28: D86C0080 4200000A
	ds_read_b32 v67, v10 offset:192                            // 00000000AB30: D86C00C0 4300000A
	ds_read_b32 v68, v10 offset:256                            // 00000000AB38: D86C0100 4400000A
	ds_read_b32 v69, v10 offset:320                            // 00000000AB40: D86C0140 4500000A
	ds_read_b32 v70, v10 offset:384                            // 00000000AB48: D86C0180 4600000A
	ds_read_b32 v71, v10 offset:448                            // 00000000AB50: D86C01C0 4700000A
	ds_read_b32 v72, v10 offset:512                            // 00000000AB58: D86C0200 4800000A
	ds_read_b32 v73, v10 offset:576                            // 00000000AB60: D86C0240 4900000A
	ds_read_b32 v74, v10 offset:640                            // 00000000AB68: D86C0280 4A00000A
	ds_read_b32 v75, v10 offset:704                            // 00000000AB70: D86C02C0 4B00000A
	ds_read_b32 v76, v10 offset:768                            // 00000000AB78: D86C0300 4C00000A
	ds_read_b32 v77, v10 offset:832                            // 00000000AB80: D86C0340 4D00000A
	ds_read_b32 v78, v10 offset:896                            // 00000000AB88: D86C0380 4E00000A
	ds_read_b32 v79, v10 offset:960                            // 00000000AB90: D86C03C0 4F00000A
	s_waitcnt lgkmcnt(0)                                       // 00000000AB98: BF8CC07F
	v_max3_f32 v50, v64, v65, v50                              // 00000000AB9C: D1D30032 04CA8340
	v_max3_f32 v50, v66, v67, v50                              // 00000000ABA4: D1D30032 04CA8742
	v_max3_f32 v50, v68, v69, v50                              // 00000000ABAC: D1D30032 04CA8B44
	v_max3_f32 v50, v70, v71, v50                              // 00000000ABB4: D1D30032 04CA8F46
	v_max3_f32 v50, v72, v73, v50                              // 00000000ABBC: D1D30032 04CA9348
	v_max3_f32 v50, v74, v75, v50                              // 00000000ABC4: D1D30032 04CA974A
	v_max3_f32 v50, v76, v77, v50                              // 00000000ABCC: D1D30032 04CA9B4C
	v_max3_f32 v50, v78, v79, v50                              // 00000000ABD4: D1D30032 04CA9F4E
	v_cmp_eq_u32_e64 s[40:41], v55, v15                        // 00000000ABDC: D0CA0028 00021F37
	s_nop 1                                                    // 00000000ABE4: BF800001
	v_max_f32_e32 v16, v50, v15                                // 00000000ABE8: 16201F32
	v_sub_f32_e32 v52, v15, v16                                // 00000000ABEC: 0468210F
	v_cndmask_b32_e64 v52, v52, 0, s[40:41]                    // 00000000ABF0: D1000034 00A10134
	v_mov_b32_e32 v15, v16                                     // 00000000ABF8: 7E1E0310
	v_mul_f32_e32 v53, s64, v16                                // 00000000ABFC: 0A6A2040
	v_mul_f32_e32 v52, s64, v52                                // 00000000AC00: 0A686840
	v_exp_f32_e32 v52, v52                                     // 00000000AC04: 7E684134
	v_fma_f32 v144, v144, s64, -v53                            // 00000000AC08: D1CB0090 84D48190
	v_fma_f32 v145, v145, s64, -v53                            // 00000000AC10: D1CB0091 84D48191
	v_fma_f32 v146, v146, s64, -v53                            // 00000000AC18: D1CB0092 84D48192
	v_fma_f32 v147, v147, s64, -v53                            // 00000000AC20: D1CB0093 84D48193
	v_fma_f32 v148, v148, s64, -v53                            // 00000000AC28: D1CB0094 84D48194
	v_fma_f32 v149, v149, s64, -v53                            // 00000000AC30: D1CB0095 84D48195
	v_fma_f32 v150, v150, s64, -v53                            // 00000000AC38: D1CB0096 84D48196
	v_fma_f32 v151, v151, s64, -v53                            // 00000000AC40: D1CB0097 84D48197
	v_fma_f32 v152, v152, s64, -v53                            // 00000000AC48: D1CB0098 84D48198
	v_fma_f32 v153, v153, s64, -v53                            // 00000000AC50: D1CB0099 84D48199
	v_fma_f32 v154, v154, s64, -v53                            // 00000000AC58: D1CB009A 84D4819A
	v_fma_f32 v155, v155, s64, -v53                            // 00000000AC60: D1CB009B 84D4819B
	v_fma_f32 v156, v156, s64, -v53                            // 00000000AC68: D1CB009C 84D4819C
	v_fma_f32 v157, v157, s64, -v53                            // 00000000AC70: D1CB009D 84D4819D
	v_fma_f32 v158, v158, s64, -v53                            // 00000000AC78: D1CB009E 84D4819E
	v_fma_f32 v159, v159, s64, -v53                            // 00000000AC80: D1CB009F 84D4819F
	v_exp_f32_e32 v144, v144                                   // 00000000AC88: 7F204190
	v_exp_f32_e32 v145, v145                                   // 00000000AC8C: 7F224191
	v_exp_f32_e32 v146, v146                                   // 00000000AC90: 7F244192
	v_exp_f32_e32 v147, v147                                   // 00000000AC94: 7F264193
	v_exp_f32_e32 v148, v148                                   // 00000000AC98: 7F284194
	v_exp_f32_e32 v149, v149                                   // 00000000AC9C: 7F2A4195
	v_exp_f32_e32 v150, v150                                   // 00000000ACA0: 7F2C4196
	v_exp_f32_e32 v151, v151                                   // 00000000ACA4: 7F2E4197
	v_exp_f32_e32 v152, v152                                   // 00000000ACA8: 7F304198
	v_exp_f32_e32 v153, v153                                   // 00000000ACAC: 7F324199
	v_exp_f32_e32 v154, v154                                   // 00000000ACB0: 7F34419A
	v_exp_f32_e32 v155, v155                                   // 00000000ACB4: 7F36419B
	v_exp_f32_e32 v156, v156                                   // 00000000ACB8: 7F38419C
	v_exp_f32_e32 v157, v157                                   // 00000000ACBC: 7F3A419D
	v_exp_f32_e32 v158, v158                                   // 00000000ACC0: 7F3C419E
	v_exp_f32_e32 v159, v159                                   // 00000000ACC4: 7F3E419F
	v_mul_f32_e32 v44, v52, v44                                // 00000000ACC8: 0A585934
	v_mov_b32_e32 v45, v144                                    // 00000000ACCC: 7E5A0390
	v_add_f32_e32 v45, v145, v45                               // 00000000ACD0: 025A5B91
	v_add_f32_e32 v45, v146, v45                               // 00000000ACD4: 025A5B92
	v_add_f32_e32 v45, v147, v45                               // 00000000ACD8: 025A5B93
	v_add_f32_e32 v45, v148, v45                               // 00000000ACDC: 025A5B94
	v_add_f32_e32 v45, v149, v45                               // 00000000ACE0: 025A5B95
	v_add_f32_e32 v45, v150, v45                               // 00000000ACE4: 025A5B96
	v_add_f32_e32 v45, v151, v45                               // 00000000ACE8: 025A5B97
	v_add_f32_e32 v45, v152, v45                               // 00000000ACEC: 025A5B98
	v_add_f32_e32 v45, v153, v45                               // 00000000ACF0: 025A5B99
	v_add_f32_e32 v45, v154, v45                               // 00000000ACF4: 025A5B9A
	v_add_f32_e32 v45, v155, v45                               // 00000000ACF8: 025A5B9B
	v_add_f32_e32 v45, v156, v45                               // 00000000ACFC: 025A5B9C
	v_add_f32_e32 v45, v157, v45                               // 00000000AD00: 025A5B9D
	v_add_f32_e32 v45, v158, v45                               // 00000000AD04: 025A5B9E
	v_add_f32_e32 v45, v159, v45                               // 00000000AD08: 025A5B9F
	v_add_f32_e32 v44, v45, v44                                // 00000000AD0C: 0258592D
	v_cvt_pkrtz_f16_f32 v39, v144, v145                        // 00000000AD10: D2960027 00032390
	v_mov_b32_e32 v144, v39                                    // 00000000AD18: 7F200327
	v_cvt_pkrtz_f16_f32 v39, v146, v147                        // 00000000AD1C: D2960027 00032792
	v_mov_b32_e32 v145, v39                                    // 00000000AD24: 7F220327
	v_cvt_pkrtz_f16_f32 v39, v148, v149                        // 00000000AD28: D2960027 00032B94
	v_mov_b32_e32 v146, v39                                    // 00000000AD30: 7F240327
	v_cvt_pkrtz_f16_f32 v39, v150, v151                        // 00000000AD34: D2960027 00032F96
	v_mov_b32_e32 v147, v39                                    // 00000000AD3C: 7F260327
	v_cvt_pkrtz_f16_f32 v39, v152, v153                        // 00000000AD40: D2960027 00033398
	v_mov_b32_e32 v148, v39                                    // 00000000AD48: 7F280327
	v_cvt_pkrtz_f16_f32 v39, v154, v155                        // 00000000AD4C: D2960027 0003379A
	v_mov_b32_e32 v149, v39                                    // 00000000AD54: 7F2A0327
	v_cvt_pkrtz_f16_f32 v39, v156, v157                        // 00000000AD58: D2960027 00033B9C
	v_mov_b32_e32 v150, v39                                    // 00000000AD60: 7F2C0327
	v_cvt_pkrtz_f16_f32 v39, v158, v159                        // 00000000AD64: D2960027 00033F9E
	v_mov_b32_e32 v151, v39                                    // 00000000AD6C: 7F2E0327
	ds_write_b64 v13, v[144:145] offset:4096                   // 00000000AD70: D89A1000 0000900D
	ds_write_b64 v13, v[146:147] offset:6144                   // 00000000AD78: D89A1800 0000920D
	ds_write_b64 v13, v[148:149] offset:8192                   // 00000000AD80: D89A2000 0000940D
	ds_write_b64 v13, v[150:151] offset:10240                  // 00000000AD88: D89A2800 0000960D
	s_waitcnt lgkmcnt(0)                                       // 00000000AD90: BF8CC07F
	s_barrier                                                  // 00000000AD94: BF8A0000
	ds_read_b64 v[144:145], v12 offset:4096                    // 00000000AD98: D8EC1000 9000000C
	ds_read_b64 v[146:147], v12 offset:4224                    // 00000000ADA0: D8EC1080 9200000C
	ds_read_b64 v[148:149], v12 offset:5120                    // 00000000ADA8: D8EC1400 9400000C
	ds_read_b64 v[150:151], v12 offset:5248                    // 00000000ADB0: D8EC1480 9600000C
	ds_read_b64 v[152:153], v12 offset:6144                    // 00000000ADB8: D8EC1800 9800000C
	ds_read_b64 v[154:155], v12 offset:6272                    // 00000000ADC0: D8EC1880 9A00000C
	ds_read_b64 v[156:157], v12 offset:7168                    // 00000000ADC8: D8EC1C00 9C00000C
	ds_read_b64 v[158:159], v12 offset:7296                    // 00000000ADD0: D8EC1C80 9E00000C
	ds_read_b64 v[160:161], v12 offset:8192                    // 00000000ADD8: D8EC2000 A000000C
	ds_read_b64 v[162:163], v12 offset:8320                    // 00000000ADE0: D8EC2080 A200000C
	ds_read_b64 v[164:165], v12 offset:9216                    // 00000000ADE8: D8EC2400 A400000C
	ds_read_b64 v[166:167], v12 offset:9344                    // 00000000ADF0: D8EC2480 A600000C
	ds_read_b64 v[168:169], v12 offset:10240                   // 00000000ADF8: D8EC2800 A800000C
	ds_read_b64 v[170:171], v12 offset:10368                   // 00000000AE00: D8EC2880 AA00000C
	ds_read_b64 v[172:173], v12 offset:11264                   // 00000000AE08: D8EC2C00 AC00000C
	ds_read_b64 v[174:175], v12 offset:11392                   // 00000000AE10: D8EC2C80 AE00000C
	s_waitcnt lgkmcnt(0)                                       // 00000000AE18: BF8CC07F
	v_mul_f32_e32 v176, v51, v176                              // 00000000AE1C: 0B616133
	v_mul_f32_e32 v177, v51, v177                              // 00000000AE20: 0B636333
	v_mul_f32_e32 v178, v51, v178                              // 00000000AE24: 0B656533
	v_mul_f32_e32 v179, v51, v179                              // 00000000AE28: 0B676733
	v_mul_f32_e32 v180, v51, v180                              // 00000000AE2C: 0B696933
	v_mul_f32_e32 v181, v51, v181                              // 00000000AE30: 0B6B6B33
	v_mul_f32_e32 v182, v51, v182                              // 00000000AE34: 0B6D6D33
	v_mul_f32_e32 v183, v51, v183                              // 00000000AE38: 0B6F6F33
	v_mul_f32_e32 v184, v52, v184                              // 00000000AE3C: 0B717134
	v_mul_f32_e32 v185, v52, v185                              // 00000000AE40: 0B737334
	v_mul_f32_e32 v186, v52, v186                              // 00000000AE44: 0B757534
	v_mul_f32_e32 v187, v52, v187                              // 00000000AE48: 0B777734
	v_mul_f32_e32 v188, v52, v188                              // 00000000AE4C: 0B797934
	v_mul_f32_e32 v189, v52, v189                              // 00000000AE50: 0B7B7B34
	v_mul_f32_e32 v190, v52, v190                              // 00000000AE54: 0B7D7D34
	v_mul_f32_e32 v191, v52, v191                              // 00000000AE58: 0B7F7F34
	s_waitcnt vmcnt(24)                                        // 00000000AE5C: BF8C4F78
	v_mfma_f32_16x16x16_f16 v[176:179], a[128:129], v[112:113], v[176:179]// 00000000AE60: D3CD00B0 0EC2E180
	v_mfma_f32_16x16x16_f16 v[176:179], a[130:131], v[114:115], v[176:179]// 00000000AE68: D3CD00B0 0EC2E582
	buffer_load_dwordx4 a[224:227], v200, s[20:23], 0 offen offset:1024// 00000000AE70: E05C1400 8085E0C8
	v_mfma_f32_16x16x16_f16 v[176:179], a[132:133], v[116:117], v[176:179]// 00000000AE78: D3CD00B0 0EC2E984
	v_mfma_f32_16x16x16_f16 v[176:179], a[134:135], v[118:119], v[176:179]// 00000000AE80: D3CD00B0 0EC2ED86
	v_mfma_f32_16x16x16_f16 v[176:179], a[136:137], v[120:121], v[176:179]// 00000000AE88: D3CD00B0 0EC2F188
	v_mfma_f32_16x16x16_f16 v[176:179], a[138:139], v[122:123], v[176:179]// 00000000AE90: D3CD00B0 0EC2F58A
	buffer_load_dwordx4 a[228:231], v201, s[20:23], 0 offen offset:1024// 00000000AE98: E05C1400 8085E4C9
	v_mfma_f32_16x16x16_f16 v[176:179], a[140:141], v[124:125], v[176:179]// 00000000AEA0: D3CD00B0 0EC2F98C
	v_mfma_f32_16x16x16_f16 v[176:179], a[142:143], v[126:127], v[176:179]// 00000000AEA8: D3CD00B0 0EC2FD8E
	v_mfma_f32_16x16x16_f16 v[176:179], a[144:145], v[128:129], v[176:179]// 00000000AEB0: D3CD00B0 0EC30190
	v_mfma_f32_16x16x16_f16 v[176:179], a[146:147], v[130:131], v[176:179]// 00000000AEB8: D3CD00B0 0EC30592
	buffer_load_dwordx4 a[232:235], v202, s[20:23], 0 offen offset:1024// 00000000AEC0: E05C1400 8085E8CA
	v_mfma_f32_16x16x16_f16 v[176:179], a[148:149], v[132:133], v[176:179]// 00000000AEC8: D3CD00B0 0EC30994
	v_mfma_f32_16x16x16_f16 v[176:179], a[150:151], v[134:135], v[176:179]// 00000000AED0: D3CD00B0 0EC30D96
	v_mfma_f32_16x16x16_f16 v[176:179], a[152:153], v[136:137], v[176:179]// 00000000AED8: D3CD00B0 0EC31198
	v_mfma_f32_16x16x16_f16 v[176:179], a[154:155], v[138:139], v[176:179]// 00000000AEE0: D3CD00B0 0EC3159A
	buffer_load_dwordx4 a[236:239], v203, s[20:23], 0 offen offset:1024// 00000000AEE8: E05C1400 8085ECCB
	v_mfma_f32_16x16x16_f16 v[176:179], a[156:157], v[140:141], v[176:179]// 00000000AEF0: D3CD00B0 0EC3199C
	v_mfma_f32_16x16x16_f16 v[176:179], a[158:159], v[142:143], v[176:179]// 00000000AEF8: D3CD00B0 0EC31D9E
	v_mfma_f32_16x16x16_f16 v[180:183], a[160:161], v[112:113], v[180:183]// 00000000AF00: D3CD00B4 0ED2E1A0
	v_mfma_f32_16x16x16_f16 v[180:183], a[162:163], v[114:115], v[180:183]// 00000000AF08: D3CD00B4 0ED2E5A2
	buffer_load_dwordx4 a[240:243], v204, s[20:23], 0 offen offset:1024// 00000000AF10: E05C1400 8085F0CC
	v_mfma_f32_16x16x16_f16 v[180:183], a[164:165], v[116:117], v[180:183]// 00000000AF18: D3CD00B4 0ED2E9A4
	v_mfma_f32_16x16x16_f16 v[180:183], a[166:167], v[118:119], v[180:183]// 00000000AF20: D3CD00B4 0ED2EDA6
	v_mfma_f32_16x16x16_f16 v[180:183], a[168:169], v[120:121], v[180:183]// 00000000AF28: D3CD00B4 0ED2F1A8
	v_mfma_f32_16x16x16_f16 v[180:183], a[170:171], v[122:123], v[180:183]// 00000000AF30: D3CD00B4 0ED2F5AA
	buffer_load_dwordx4 a[244:247], v205, s[20:23], 0 offen offset:1024// 00000000AF38: E05C1400 8085F4CD
	v_mfma_f32_16x16x16_f16 v[180:183], a[172:173], v[124:125], v[180:183]// 00000000AF40: D3CD00B4 0ED2F9AC
	v_mfma_f32_16x16x16_f16 v[180:183], a[174:175], v[126:127], v[180:183]// 00000000AF48: D3CD00B4 0ED2FDAE
	v_mfma_f32_16x16x16_f16 v[180:183], a[176:177], v[128:129], v[180:183]// 00000000AF50: D3CD00B4 0ED301B0
	v_mfma_f32_16x16x16_f16 v[180:183], a[178:179], v[130:131], v[180:183]// 00000000AF58: D3CD00B4 0ED305B2
	buffer_load_dwordx4 a[248:251], v206, s[20:23], 0 offen offset:1024// 00000000AF60: E05C1400 8085F8CE
	v_mfma_f32_16x16x16_f16 v[180:183], a[180:181], v[132:133], v[180:183]// 00000000AF68: D3CD00B4 0ED309B4
	v_mfma_f32_16x16x16_f16 v[180:183], a[182:183], v[134:135], v[180:183]// 00000000AF70: D3CD00B4 0ED30DB6
	v_mfma_f32_16x16x16_f16 v[180:183], a[184:185], v[136:137], v[180:183]// 00000000AF78: D3CD00B4 0ED311B8
	v_mfma_f32_16x16x16_f16 v[180:183], a[186:187], v[138:139], v[180:183]// 00000000AF80: D3CD00B4 0ED315BA
	buffer_load_dwordx4 a[252:255], v207, s[20:23], 0 offen offset:1024// 00000000AF88: E05C1400 8085FCCF
	v_mfma_f32_16x16x16_f16 v[180:183], a[188:189], v[140:141], v[180:183]// 00000000AF90: D3CD00B4 0ED319BC
	v_mfma_f32_16x16x16_f16 v[180:183], a[190:191], v[142:143], v[180:183]// 00000000AF98: D3CD00B4 0ED31DBE
	v_mfma_f32_16x16x16_f16 v[184:187], a[128:129], v[144:145], v[184:187]// 00000000AFA0: D3CD00B8 0EE32180
	v_mfma_f32_16x16x16_f16 v[184:187], a[130:131], v[146:147], v[184:187]// 00000000AFA8: D3CD00B8 0EE32582
	v_mfma_f32_16x16x16_f16 v[184:187], a[132:133], v[148:149], v[184:187]// 00000000AFB0: D3CD00B8 0EE32984
	v_mfma_f32_16x16x16_f16 v[184:187], a[134:135], v[150:151], v[184:187]// 00000000AFB8: D3CD00B8 0EE32D86
	v_mfma_f32_16x16x16_f16 v[184:187], a[136:137], v[152:153], v[184:187]// 00000000AFC0: D3CD00B8 0EE33188
	v_mfma_f32_16x16x16_f16 v[184:187], a[138:139], v[154:155], v[184:187]// 00000000AFC8: D3CD00B8 0EE3358A
	v_mfma_f32_16x16x16_f16 v[184:187], a[140:141], v[156:157], v[184:187]// 00000000AFD0: D3CD00B8 0EE3398C
	v_mfma_f32_16x16x16_f16 v[184:187], a[142:143], v[158:159], v[184:187]// 00000000AFD8: D3CD00B8 0EE33D8E
	v_mfma_f32_16x16x16_f16 v[184:187], a[144:145], v[160:161], v[184:187]// 00000000AFE0: D3CD00B8 0EE34190
	v_mfma_f32_16x16x16_f16 v[184:187], a[146:147], v[162:163], v[184:187]// 00000000AFE8: D3CD00B8 0EE34592
	v_mfma_f32_16x16x16_f16 v[184:187], a[148:149], v[164:165], v[184:187]// 00000000AFF0: D3CD00B8 0EE34994
	v_mfma_f32_16x16x16_f16 v[184:187], a[150:151], v[166:167], v[184:187]// 00000000AFF8: D3CD00B8 0EE34D96
	v_mfma_f32_16x16x16_f16 v[184:187], a[152:153], v[168:169], v[184:187]// 00000000B000: D3CD00B8 0EE35198
	v_mfma_f32_16x16x16_f16 v[184:187], a[154:155], v[170:171], v[184:187]// 00000000B008: D3CD00B8 0EE3559A
	v_mfma_f32_16x16x16_f16 v[184:187], a[156:157], v[172:173], v[184:187]// 00000000B010: D3CD00B8 0EE3599C
	v_mfma_f32_16x16x16_f16 v[184:187], a[158:159], v[174:175], v[184:187]// 00000000B018: D3CD00B8 0EE35D9E
	v_mfma_f32_16x16x16_f16 v[188:191], a[160:161], v[144:145], v[188:191]// 00000000B020: D3CD00BC 0EF321A0
	v_mfma_f32_16x16x16_f16 v[188:191], a[162:163], v[146:147], v[188:191]// 00000000B028: D3CD00BC 0EF325A2
	v_mfma_f32_16x16x16_f16 v[188:191], a[164:165], v[148:149], v[188:191]// 00000000B030: D3CD00BC 0EF329A4
	v_mfma_f32_16x16x16_f16 v[188:191], a[166:167], v[150:151], v[188:191]// 00000000B038: D3CD00BC 0EF32DA6
	v_mfma_f32_16x16x16_f16 v[188:191], a[168:169], v[152:153], v[188:191]// 00000000B040: D3CD00BC 0EF331A8
	v_mfma_f32_16x16x16_f16 v[188:191], a[170:171], v[154:155], v[188:191]// 00000000B048: D3CD00BC 0EF335AA
	v_mfma_f32_16x16x16_f16 v[188:191], a[172:173], v[156:157], v[188:191]// 00000000B050: D3CD00BC 0EF339AC
	v_mfma_f32_16x16x16_f16 v[188:191], a[174:175], v[158:159], v[188:191]// 00000000B058: D3CD00BC 0EF33DAE
	v_mfma_f32_16x16x16_f16 v[188:191], a[176:177], v[160:161], v[188:191]// 00000000B060: D3CD00BC 0EF341B0
	v_mfma_f32_16x16x16_f16 v[188:191], a[178:179], v[162:163], v[188:191]// 00000000B068: D3CD00BC 0EF345B2
	v_mfma_f32_16x16x16_f16 v[188:191], a[180:181], v[164:165], v[188:191]// 00000000B070: D3CD00BC 0EF349B4
	v_mfma_f32_16x16x16_f16 v[188:191], a[182:183], v[166:167], v[188:191]// 00000000B078: D3CD00BC 0EF34DB6
	v_mfma_f32_16x16x16_f16 v[188:191], a[184:185], v[168:169], v[188:191]// 00000000B080: D3CD00BC 0EF351B8
	v_mfma_f32_16x16x16_f16 v[188:191], a[186:187], v[170:171], v[188:191]// 00000000B088: D3CD00BC 0EF355BA
	v_mfma_f32_16x16x16_f16 v[188:191], a[188:189], v[172:173], v[188:191]// 00000000B090: D3CD00BC 0EF359BC
	v_mfma_f32_16x16x16_f16 v[188:191], a[190:191], v[174:175], v[188:191]// 00000000B098: D3CD00BC 0EF35DBE
	s_lshr_b32 s60, s70, 4                                     // 00000000B0A0: 8F3C8446
	s_add_u32 s60, 48, s60                                     // 00000000B0A4: 803C3CB0
	s_cmp_ge_u32 s60, s73                                      // 00000000B0A8: BF09493C
	s_cselect_b32 s56, 0, s56                                  // 00000000B0AC: 85383880
	v_mul_u32_u24_dpp v39, v17, v54 row_newbcast:0 row_mask:0xf bank_mask:0xf// 00000000B0B0: 104E6CFA FF015011
	v_mul_u32_u24_dpp v40, v17, v54 row_newbcast:4 row_mask:0xf bank_mask:0xf// 00000000B0B8: 10506CFA FF015411
	v_mul_u32_u24_dpp v41, v17, v54 row_newbcast:8 row_mask:0xf bank_mask:0xf// 00000000B0C0: 10526CFA FF015811
	v_mul_u32_u24_dpp v42, v17, v54 row_newbcast:12 row_mask:0xf bank_mask:0xf// 00000000B0C8: 10546CFA FF015C11
	v_add_u32_e32 v23, v39, v6                                 // 00000000B0D0: 682E0D27
	v_add_u32_e32 v24, v40, v6                                 // 00000000B0D4: 68300D28
	v_add_u32_e32 v25, v41, v6                                 // 00000000B0D8: 68320D29
	v_add_u32_e32 v26, v42, v6                                 // 00000000B0DC: 68340D2A
	v_mul_u32_u24_dpp v39, v17, v54 row_newbcast:1 row_mask:0xf bank_mask:0xf// 00000000B0E0: 104E6CFA FF015111
	v_mul_u32_u24_dpp v40, v17, v54 row_newbcast:2 row_mask:0xf bank_mask:0xf// 00000000B0E8: 10506CFA FF015211
	v_mul_u32_u24_dpp v41, v17, v54 row_newbcast:5 row_mask:0xf bank_mask:0xf// 00000000B0F0: 10526CFA FF015511
	v_mul_u32_u24_dpp v42, v17, v54 row_newbcast:6 row_mask:0xf bank_mask:0xf// 00000000B0F8: 10546CFA FF015611
	v_add_u32_e32 v192, v39, v7                                // 00000000B100: 69800F27
	v_add_u32_e32 v193, v40, v7                                // 00000000B104: 69820F28
	v_add_u32_e32 v194, v41, v7                                // 00000000B108: 69840F29
	v_add_u32_e32 v195, v42, v7                                // 00000000B10C: 69860F2A
	v_mul_u32_u24_dpp v39, v17, v54 row_newbcast:9 row_mask:0xf bank_mask:0xf// 00000000B110: 104E6CFA FF015911
	v_mul_u32_u24_dpp v40, v17, v54 row_newbcast:10 row_mask:0xf bank_mask:0xf// 00000000B118: 10506CFA FF015A11
	v_mul_u32_u24_dpp v41, v17, v54 row_newbcast:13 row_mask:0xf bank_mask:0xf// 00000000B120: 10526CFA FF015D11
	v_mul_u32_u24_dpp v42, v17, v54 row_newbcast:7 row_mask:0xf bank_mask:0xf// 00000000B128: 10546CFA FF015711
	v_add_u32_e32 v196, v39, v7                                // 00000000B130: 69880F27
	v_add_u32_e32 v197, v40, v7                                // 00000000B134: 698A0F28
	v_add_u32_e32 v198, v41, v7                                // 00000000B138: 698C0F29
	v_add_u32_e32 v199, v42, v7                                // 00000000B13C: 698E0F2A
	v_add_u32_e32 v1, s56, v1                                  // 00000000B140: 68020238
	s_addk_i32 s70, 0x100                                      // 00000000B144: B7460100
	s_cmp_lt_i32 s70, s71                                      // 00000000B148: BF044746
	s_cbranch_scc0 label_27F1                                  // 00000000B14C: BF84041C
	s_waitcnt vmcnt(16) lgkmcnt(0)                             // 00000000B150: BF8C4070
	v_mfma_f32_16x16x16_f16 v[112:115], a[64:65], v[80:81], 0  // 00000000B154: D3CD0070 0A02A140
	v_mfma_f32_16x16x16_f16 v[112:115], a[66:67], v[82:83], v[112:115]// 00000000B15C: D3CD0070 0DC2A542
	buffer_load_dwordx4 a[0:3], v23, s[16:19], 0 offen         // 00000000B164: E05C1000 80840017
	v_mfma_f32_16x16x16_f16 v[112:115], a[68:69], v[84:85], v[112:115]// 00000000B16C: D3CD0070 0DC2A944
	v_mfma_f32_16x16x16_f16 v[112:115], a[70:71], v[86:87], v[112:115]// 00000000B174: D3CD0070 0DC2AD46
	buffer_load_dword v18, v1, s[24:27], 0 offen               // 00000000B17C: E0501000 80061201
	v_mfma_f32_16x16x16_f16 v[112:115], a[72:73], v[88:89], v[112:115]// 00000000B184: D3CD0070 0DC2B148
	v_mfma_f32_16x16x16_f16 v[112:115], a[74:75], v[90:91], v[112:115]// 00000000B18C: D3CD0070 0DC2B54A
	buffer_load_dwordx4 a[4:7], v23, s[16:19], 0 offen offset:1024// 00000000B194: E05C1400 80840417
	v_mfma_f32_16x16x16_f16 v[112:115], a[76:77], v[92:93], v[112:115]// 00000000B19C: D3CD0070 0DC2B94C
	v_mfma_f32_16x16x16_f16 v[112:115], a[78:79], v[94:95], v[112:115]// 00000000B1A4: D3CD0070 0DC2BD4E
	v_mfma_f32_16x16x16_f16 v[116:119], a[80:81], v[80:81], 0  // 00000000B1AC: D3CD0074 0A02A150
	v_mfma_f32_16x16x16_f16 v[116:119], a[82:83], v[82:83], v[116:119]// 00000000B1B4: D3CD0074 0DD2A552
	buffer_load_dwordx4 a[8:11], v23, s[16:19], 0 offen offset:2048// 00000000B1BC: E05C1800 80840817
	v_mfma_f32_16x16x16_f16 v[116:119], a[84:85], v[84:85], v[116:119]// 00000000B1C4: D3CD0074 0DD2A954
	v_mfma_f32_16x16x16_f16 v[116:119], a[86:87], v[86:87], v[116:119]// 00000000B1CC: D3CD0074 0DD2AD56
	v_mfma_f32_16x16x16_f16 v[116:119], a[88:89], v[88:89], v[116:119]// 00000000B1D4: D3CD0074 0DD2B158
	v_mfma_f32_16x16x16_f16 v[116:119], a[90:91], v[90:91], v[116:119]// 00000000B1DC: D3CD0074 0DD2B55A
	buffer_load_dwordx4 a[12:15], v23, s[16:19], 0 offen offset:3072// 00000000B1E4: E05C1C00 80840C17
	v_mfma_f32_16x16x16_f16 v[116:119], a[92:93], v[92:93], v[116:119]// 00000000B1EC: D3CD0074 0DD2B95C
	v_mfma_f32_16x16x16_f16 v[116:119], a[94:95], v[94:95], v[116:119]// 00000000B1F4: D3CD0074 0DD2BD5E
	v_mfma_f32_16x16x16_f16 v[120:123], a[96:97], v[80:81], 0  // 00000000B1FC: D3CD0078 0A02A160
	v_mfma_f32_16x16x16_f16 v[120:123], a[98:99], v[82:83], v[120:123]// 00000000B204: D3CD0078 0DE2A562
	buffer_load_dwordx4 a[16:19], v24, s[16:19], 0 offen       // 00000000B20C: E05C1000 80841018
	v_mfma_f32_16x16x16_f16 v[120:123], a[100:101], v[84:85], v[120:123]// 00000000B214: D3CD0078 0DE2A964
	v_mfma_f32_16x16x16_f16 v[120:123], a[102:103], v[86:87], v[120:123]// 00000000B21C: D3CD0078 0DE2AD66
	v_mfma_f32_16x16x16_f16 v[120:123], a[104:105], v[88:89], v[120:123]// 00000000B224: D3CD0078 0DE2B168
	v_mfma_f32_16x16x16_f16 v[120:123], a[106:107], v[90:91], v[120:123]// 00000000B22C: D3CD0078 0DE2B56A
	buffer_load_dwordx4 a[20:23], v24, s[16:19], 0 offen offset:1024// 00000000B234: E05C1400 80841418
	v_mfma_f32_16x16x16_f16 v[120:123], a[108:109], v[92:93], v[120:123]// 00000000B23C: D3CD0078 0DE2B96C
	v_mfma_f32_16x16x16_f16 v[120:123], a[110:111], v[94:95], v[120:123]// 00000000B244: D3CD0078 0DE2BD6E
	v_mfma_f32_16x16x16_f16 v[124:127], a[112:113], v[80:81], 0// 00000000B24C: D3CD007C 0A02A170
	v_mfma_f32_16x16x16_f16 v[124:127], a[114:115], v[82:83], v[124:127]// 00000000B254: D3CD007C 0DF2A572
	buffer_load_dwordx4 a[24:27], v24, s[16:19], 0 offen offset:2048// 00000000B25C: E05C1800 80841818
	v_mfma_f32_16x16x16_f16 v[124:127], a[116:117], v[84:85], v[124:127]// 00000000B264: D3CD007C 0DF2A974
	v_mfma_f32_16x16x16_f16 v[124:127], a[118:119], v[86:87], v[124:127]// 00000000B26C: D3CD007C 0DF2AD76
	v_mfma_f32_16x16x16_f16 v[124:127], a[120:121], v[88:89], v[124:127]// 00000000B274: D3CD007C 0DF2B178
	v_mfma_f32_16x16x16_f16 v[124:127], a[122:123], v[90:91], v[124:127]// 00000000B27C: D3CD007C 0DF2B57A
	buffer_load_dwordx4 a[28:31], v24, s[16:19], 0 offen offset:3072// 00000000B284: E05C1C00 80841C18
	v_mfma_f32_16x16x16_f16 v[124:127], a[124:125], v[92:93], v[124:127]// 00000000B28C: D3CD007C 0DF2B97C
	v_mfma_f32_16x16x16_f16 v[124:127], a[126:127], v[94:95], v[124:127]// 00000000B294: D3CD007C 0DF2BD7E
	s_cmp_le_i32 s90, s89                                      // 00000000B29C: BF05595A
	s_cbranch_scc1 label_249D                                  // 00000000B2A0: BF850073
	v_mov_b32_e32 v55, 0xff800000                              // 00000000B2A4: 7E6E02FF FF800000
	s_mov_b32 s60, s90                                         // 00000000B2AC: BEBC005A
	s_add_u32 s61, s89, 0xff                                   // 00000000B2B0: 803DFF59 000000FF
	v_mov_b32_e32 v39, s61                                     // 00000000B2B8: 7E4E023D
	v_lshrrev_b32_e32 v31, 4, v0                               // 00000000B2BC: 203E0084
	v_mul_i32_i24_e32 v31, 4, v31                              // 00000000B2C0: 0C3E3E84
	v_add_u32_e32 v31, s60, v31                                // 00000000B2C4: 683E3E3C
	v_and_b32_e32 v40, 15, v0                                  // 00000000B2C8: 2650008F
	v_lshrrev_b32_e32 v40, 3, v40                              // 00000000B2CC: 20505083
	s_mov_b32 s61, 0                                           // 00000000B2D0: BEBD0080
	s_mul_i32 s60, 16, s7                                      // 00000000B2D4: 923C0790
	v_add_u32_e32 v40, s61, v40                                // 00000000B2D8: 6850503D
	v_sub_u32_e32 v31, v31, v40                                // 00000000B2DC: 6A3E511F
	v_add_u32_e32 v31, s60, v31                                // 00000000B2E0: 683E3E3C
	v_add_u32_e32 v32, 1, v31                                  // 00000000B2E4: 68403E81
	v_add_u32_e32 v33, 2, v31                                  // 00000000B2E8: 68423E82
	v_add_u32_e32 v34, 3, v31                                  // 00000000B2EC: 68443E83
	v_cmp_le_u32_e64 s[40:41], v31, v39                        // 00000000B2F0: D0CB0028 00024F1F
	v_add_u32_e32 v31, 64, v31                                 // 00000000B2F8: 683E3EC0
	s_nop 0                                                    // 00000000B2FC: BF800000
	v_cndmask_b32_e64 v112, v55, v112, s[40:41]                // 00000000B300: D1000070 00A2E137
	v_cmp_le_u32_e64 s[40:41], v32, v39                        // 00000000B308: D0CB0028 00024F20
	v_add_u32_e32 v32, 64, v32                                 // 00000000B310: 684040C0
	s_nop 0                                                    // 00000000B314: BF800000
	v_cndmask_b32_e64 v113, v55, v113, s[40:41]                // 00000000B318: D1000071 00A2E337
	v_cmp_le_u32_e64 s[40:41], v33, v39                        // 00000000B320: D0CB0028 00024F21
	v_add_u32_e32 v33, 64, v33                                 // 00000000B328: 684242C0
	s_nop 0                                                    // 00000000B32C: BF800000
	v_cndmask_b32_e64 v114, v55, v114, s[40:41]                // 00000000B330: D1000072 00A2E537
	v_cmp_le_u32_e64 s[40:41], v34, v39                        // 00000000B338: D0CB0028 00024F22
	v_add_u32_e32 v34, 64, v34                                 // 00000000B340: 684444C0
	s_nop 0                                                    // 00000000B344: BF800000
	v_cndmask_b32_e64 v115, v55, v115, s[40:41]                // 00000000B348: D1000073 00A2E737
	v_cmp_le_u32_e64 s[40:41], v31, v39                        // 00000000B350: D0CB0028 00024F1F
	v_add_u32_e32 v31, 64, v31                                 // 00000000B358: 683E3EC0
	s_nop 0                                                    // 00000000B35C: BF800000
	v_cndmask_b32_e64 v116, v55, v116, s[40:41]                // 00000000B360: D1000074 00A2E937
	v_cmp_le_u32_e64 s[40:41], v32, v39                        // 00000000B368: D0CB0028 00024F20
	v_add_u32_e32 v32, 64, v32                                 // 00000000B370: 684040C0
	s_nop 0                                                    // 00000000B374: BF800000
	v_cndmask_b32_e64 v117, v55, v117, s[40:41]                // 00000000B378: D1000075 00A2EB37
	v_cmp_le_u32_e64 s[40:41], v33, v39                        // 00000000B380: D0CB0028 00024F21
	v_add_u32_e32 v33, 64, v33                                 // 00000000B388: 684242C0
	s_nop 0                                                    // 00000000B38C: BF800000
	v_cndmask_b32_e64 v118, v55, v118, s[40:41]                // 00000000B390: D1000076 00A2ED37
	v_cmp_le_u32_e64 s[40:41], v34, v39                        // 00000000B398: D0CB0028 00024F22
	v_add_u32_e32 v34, 64, v34                                 // 00000000B3A0: 684444C0
	s_nop 0                                                    // 00000000B3A4: BF800000
	v_cndmask_b32_e64 v119, v55, v119, s[40:41]                // 00000000B3A8: D1000077 00A2EF37
	v_cmp_le_u32_e64 s[40:41], v31, v39                        // 00000000B3B0: D0CB0028 00024F1F
	v_add_u32_e32 v31, 64, v31                                 // 00000000B3B8: 683E3EC0
	s_nop 0                                                    // 00000000B3BC: BF800000
	v_cndmask_b32_e64 v120, v55, v120, s[40:41]                // 00000000B3C0: D1000078 00A2F137
	v_cmp_le_u32_e64 s[40:41], v32, v39                        // 00000000B3C8: D0CB0028 00024F20
	v_add_u32_e32 v32, 64, v32                                 // 00000000B3D0: 684040C0
	s_nop 0                                                    // 00000000B3D4: BF800000
	v_cndmask_b32_e64 v121, v55, v121, s[40:41]                // 00000000B3D8: D1000079 00A2F337
	v_cmp_le_u32_e64 s[40:41], v33, v39                        // 00000000B3E0: D0CB0028 00024F21
	v_add_u32_e32 v33, 64, v33                                 // 00000000B3E8: 684242C0
	s_nop 0                                                    // 00000000B3EC: BF800000
	v_cndmask_b32_e64 v122, v55, v122, s[40:41]                // 00000000B3F0: D100007A 00A2F537
	v_cmp_le_u32_e64 s[40:41], v34, v39                        // 00000000B3F8: D0CB0028 00024F22
	v_add_u32_e32 v34, 64, v34                                 // 00000000B400: 684444C0
	s_nop 0                                                    // 00000000B404: BF800000
	v_cndmask_b32_e64 v123, v55, v123, s[40:41]                // 00000000B408: D100007B 00A2F737
	v_cmp_le_u32_e64 s[40:41], v31, v39                        // 00000000B410: D0CB0028 00024F1F
	v_add_u32_e32 v31, 64, v31                                 // 00000000B418: 683E3EC0
	s_nop 0                                                    // 00000000B41C: BF800000
	v_cndmask_b32_e64 v124, v55, v124, s[40:41]                // 00000000B420: D100007C 00A2F937
	v_cmp_le_u32_e64 s[40:41], v32, v39                        // 00000000B428: D0CB0028 00024F20
	v_add_u32_e32 v32, 64, v32                                 // 00000000B430: 684040C0
	s_nop 0                                                    // 00000000B434: BF800000
	v_cndmask_b32_e64 v125, v55, v125, s[40:41]                // 00000000B438: D100007D 00A2FB37
	v_cmp_le_u32_e64 s[40:41], v33, v39                        // 00000000B440: D0CB0028 00024F21
	v_add_u32_e32 v33, 64, v33                                 // 00000000B448: 684242C0
	s_nop 0                                                    // 00000000B44C: BF800000
	v_cndmask_b32_e64 v126, v55, v126, s[40:41]                // 00000000B450: D100007E 00A2FD37
	v_cmp_le_u32_e64 s[40:41], v34, v39                        // 00000000B458: D0CB0028 00024F22
	v_add_u32_e32 v34, 64, v34                                 // 00000000B460: 684444C0
	s_nop 0                                                    // 00000000B464: BF800000
	v_cndmask_b32_e64 v127, v55, v127, s[40:41]                // 00000000B468: D100007F 00A2FF37

000000000000b470 <label_249D>:
	s_waitcnt vmcnt(16) lgkmcnt(0)                             // 00000000B470: BF8C4070
	v_mfma_f32_16x16x16_f16 v[144:147], a[64:65], v[96:97], 0  // 00000000B474: D3CD0090 0A02C140
	v_mfma_f32_16x16x16_f16 v[144:147], a[66:67], v[98:99], v[144:147]// 00000000B47C: D3CD0090 0E42C542
	v_mfma_f32_16x16x16_f16 v[144:147], a[68:69], v[100:101], v[144:147]// 00000000B484: D3CD0090 0E42C944
	v_mfma_f32_16x16x16_f16 v[144:147], a[70:71], v[102:103], v[144:147]// 00000000B48C: D3CD0090 0E42CD46
	v_mfma_f32_16x16x16_f16 v[144:147], a[72:73], v[104:105], v[144:147]// 00000000B494: D3CD0090 0E42D148
	v_mfma_f32_16x16x16_f16 v[144:147], a[74:75], v[106:107], v[144:147]// 00000000B49C: D3CD0090 0E42D54A
	v_mfma_f32_16x16x16_f16 v[144:147], a[76:77], v[108:109], v[144:147]// 00000000B4A4: D3CD0090 0E42D94C
	v_mfma_f32_16x16x16_f16 v[144:147], a[78:79], v[110:111], v[144:147]// 00000000B4AC: D3CD0090 0E42DD4E
	v_mfma_f32_16x16x16_f16 v[148:151], a[80:81], v[96:97], 0  // 00000000B4B4: D3CD0094 0A02C150
	v_mfma_f32_16x16x16_f16 v[148:151], a[82:83], v[98:99], v[148:151]// 00000000B4BC: D3CD0094 0E52C552
	v_mfma_f32_16x16x16_f16 v[148:151], a[84:85], v[100:101], v[148:151]// 00000000B4C4: D3CD0094 0E52C954
	v_mfma_f32_16x16x16_f16 v[148:151], a[86:87], v[102:103], v[148:151]// 00000000B4CC: D3CD0094 0E52CD56
	v_mfma_f32_16x16x16_f16 v[148:151], a[88:89], v[104:105], v[148:151]// 00000000B4D4: D3CD0094 0E52D158
	v_mfma_f32_16x16x16_f16 v[148:151], a[90:91], v[106:107], v[148:151]// 00000000B4DC: D3CD0094 0E52D55A
	v_mfma_f32_16x16x16_f16 v[148:151], a[92:93], v[108:109], v[148:151]// 00000000B4E4: D3CD0094 0E52D95C
	v_mfma_f32_16x16x16_f16 v[148:151], a[94:95], v[110:111], v[148:151]// 00000000B4EC: D3CD0094 0E52DD5E
	v_mfma_f32_16x16x16_f16 v[152:155], a[96:97], v[96:97], 0  // 00000000B4F4: D3CD0098 0A02C160
	v_mfma_f32_16x16x16_f16 v[152:155], a[98:99], v[98:99], v[152:155]// 00000000B4FC: D3CD0098 0E62C562
	v_mfma_f32_16x16x16_f16 v[152:155], a[100:101], v[100:101], v[152:155]// 00000000B504: D3CD0098 0E62C964
	v_mfma_f32_16x16x16_f16 v[152:155], a[102:103], v[102:103], v[152:155]// 00000000B50C: D3CD0098 0E62CD66
	v_mfma_f32_16x16x16_f16 v[152:155], a[104:105], v[104:105], v[152:155]// 00000000B514: D3CD0098 0E62D168
	v_mfma_f32_16x16x16_f16 v[152:155], a[106:107], v[106:107], v[152:155]// 00000000B51C: D3CD0098 0E62D56A
	v_mfma_f32_16x16x16_f16 v[152:155], a[108:109], v[108:109], v[152:155]// 00000000B524: D3CD0098 0E62D96C
	v_mfma_f32_16x16x16_f16 v[152:155], a[110:111], v[110:111], v[152:155]// 00000000B52C: D3CD0098 0E62DD6E
	v_mfma_f32_16x16x16_f16 v[156:159], a[112:113], v[96:97], 0// 00000000B534: D3CD009C 0A02C170
	v_mfma_f32_16x16x16_f16 v[156:159], a[114:115], v[98:99], v[156:159]// 00000000B53C: D3CD009C 0E72C572
	v_mfma_f32_16x16x16_f16 v[156:159], a[116:117], v[100:101], v[156:159]// 00000000B544: D3CD009C 0E72C974
	v_mfma_f32_16x16x16_f16 v[156:159], a[118:119], v[102:103], v[156:159]// 00000000B54C: D3CD009C 0E72CD76
	v_mfma_f32_16x16x16_f16 v[156:159], a[120:121], v[104:105], v[156:159]// 00000000B554: D3CD009C 0E72D178
	v_mfma_f32_16x16x16_f16 v[156:159], a[122:123], v[106:107], v[156:159]// 00000000B55C: D3CD009C 0E72D57A
	v_mfma_f32_16x16x16_f16 v[156:159], a[124:125], v[108:109], v[156:159]// 00000000B564: D3CD009C 0E72D97C
	v_mfma_f32_16x16x16_f16 v[156:159], a[126:127], v[110:111], v[156:159]// 00000000B56C: D3CD009C 0E72DD7E
	s_cmp_le_i32 s90, s89                                      // 00000000B574: BF05595A
	s_cbranch_scc1 label_2553                                  // 00000000B578: BF850073
	v_mov_b32_e32 v55, 0xff800000                              // 00000000B57C: 7E6E02FF FF800000
	s_mov_b32 s60, s90                                         // 00000000B584: BEBC005A
	s_add_u32 s61, s89, 0xff                                   // 00000000B588: 803DFF59 000000FF
	v_mov_b32_e32 v39, s61                                     // 00000000B590: 7E4E023D
	v_lshrrev_b32_e32 v31, 4, v0                               // 00000000B594: 203E0084
	v_mul_i32_i24_e32 v31, 4, v31                              // 00000000B598: 0C3E3E84
	v_add_u32_e32 v31, s60, v31                                // 00000000B59C: 683E3E3C
	v_and_b32_e32 v40, 15, v0                                  // 00000000B5A0: 2650008F
	v_lshrrev_b32_e32 v40, 3, v40                              // 00000000B5A4: 20505083
	s_mov_b32 s61, 2                                           // 00000000B5A8: BEBD0082
	s_mul_i32 s60, 16, s7                                      // 00000000B5AC: 923C0790
	v_add_u32_e32 v40, s61, v40                                // 00000000B5B0: 6850503D
	v_sub_u32_e32 v31, v31, v40                                // 00000000B5B4: 6A3E511F
	v_add_u32_e32 v31, s60, v31                                // 00000000B5B8: 683E3E3C
	v_add_u32_e32 v32, 1, v31                                  // 00000000B5BC: 68403E81
	v_add_u32_e32 v33, 2, v31                                  // 00000000B5C0: 68423E82
	v_add_u32_e32 v34, 3, v31                                  // 00000000B5C4: 68443E83
	v_cmp_le_u32_e64 s[40:41], v31, v39                        // 00000000B5C8: D0CB0028 00024F1F
	v_add_u32_e32 v31, 64, v31                                 // 00000000B5D0: 683E3EC0
	s_nop 0                                                    // 00000000B5D4: BF800000
	v_cndmask_b32_e64 v144, v55, v144, s[40:41]                // 00000000B5D8: D1000090 00A32137
	v_cmp_le_u32_e64 s[40:41], v32, v39                        // 00000000B5E0: D0CB0028 00024F20
	v_add_u32_e32 v32, 64, v32                                 // 00000000B5E8: 684040C0
	s_nop 0                                                    // 00000000B5EC: BF800000
	v_cndmask_b32_e64 v145, v55, v145, s[40:41]                // 00000000B5F0: D1000091 00A32337
	v_cmp_le_u32_e64 s[40:41], v33, v39                        // 00000000B5F8: D0CB0028 00024F21
	v_add_u32_e32 v33, 64, v33                                 // 00000000B600: 684242C0
	s_nop 0                                                    // 00000000B604: BF800000
	v_cndmask_b32_e64 v146, v55, v146, s[40:41]                // 00000000B608: D1000092 00A32537
	v_cmp_le_u32_e64 s[40:41], v34, v39                        // 00000000B610: D0CB0028 00024F22
	v_add_u32_e32 v34, 64, v34                                 // 00000000B618: 684444C0
	s_nop 0                                                    // 00000000B61C: BF800000
	v_cndmask_b32_e64 v147, v55, v147, s[40:41]                // 00000000B620: D1000093 00A32737
	v_cmp_le_u32_e64 s[40:41], v31, v39                        // 00000000B628: D0CB0028 00024F1F
	v_add_u32_e32 v31, 64, v31                                 // 00000000B630: 683E3EC0
	s_nop 0                                                    // 00000000B634: BF800000
	v_cndmask_b32_e64 v148, v55, v148, s[40:41]                // 00000000B638: D1000094 00A32937
	v_cmp_le_u32_e64 s[40:41], v32, v39                        // 00000000B640: D0CB0028 00024F20
	v_add_u32_e32 v32, 64, v32                                 // 00000000B648: 684040C0
	s_nop 0                                                    // 00000000B64C: BF800000
	v_cndmask_b32_e64 v149, v55, v149, s[40:41]                // 00000000B650: D1000095 00A32B37
	v_cmp_le_u32_e64 s[40:41], v33, v39                        // 00000000B658: D0CB0028 00024F21
	v_add_u32_e32 v33, 64, v33                                 // 00000000B660: 684242C0
	s_nop 0                                                    // 00000000B664: BF800000
	v_cndmask_b32_e64 v150, v55, v150, s[40:41]                // 00000000B668: D1000096 00A32D37
	v_cmp_le_u32_e64 s[40:41], v34, v39                        // 00000000B670: D0CB0028 00024F22
	v_add_u32_e32 v34, 64, v34                                 // 00000000B678: 684444C0
	s_nop 0                                                    // 00000000B67C: BF800000
	v_cndmask_b32_e64 v151, v55, v151, s[40:41]                // 00000000B680: D1000097 00A32F37
	v_cmp_le_u32_e64 s[40:41], v31, v39                        // 00000000B688: D0CB0028 00024F1F
	v_add_u32_e32 v31, 64, v31                                 // 00000000B690: 683E3EC0
	s_nop 0                                                    // 00000000B694: BF800000
	v_cndmask_b32_e64 v152, v55, v152, s[40:41]                // 00000000B698: D1000098 00A33137
	v_cmp_le_u32_e64 s[40:41], v32, v39                        // 00000000B6A0: D0CB0028 00024F20
	v_add_u32_e32 v32, 64, v32                                 // 00000000B6A8: 684040C0
	s_nop 0                                                    // 00000000B6AC: BF800000
	v_cndmask_b32_e64 v153, v55, v153, s[40:41]                // 00000000B6B0: D1000099 00A33337
	v_cmp_le_u32_e64 s[40:41], v33, v39                        // 00000000B6B8: D0CB0028 00024F21
	v_add_u32_e32 v33, 64, v33                                 // 00000000B6C0: 684242C0
	s_nop 0                                                    // 00000000B6C4: BF800000
	v_cndmask_b32_e64 v154, v55, v154, s[40:41]                // 00000000B6C8: D100009A 00A33537
	v_cmp_le_u32_e64 s[40:41], v34, v39                        // 00000000B6D0: D0CB0028 00024F22
	v_add_u32_e32 v34, 64, v34                                 // 00000000B6D8: 684444C0
	s_nop 0                                                    // 00000000B6DC: BF800000
	v_cndmask_b32_e64 v155, v55, v155, s[40:41]                // 00000000B6E0: D100009B 00A33737
	v_cmp_le_u32_e64 s[40:41], v31, v39                        // 00000000B6E8: D0CB0028 00024F1F
	v_add_u32_e32 v31, 64, v31                                 // 00000000B6F0: 683E3EC0
	s_nop 0                                                    // 00000000B6F4: BF800000
	v_cndmask_b32_e64 v156, v55, v156, s[40:41]                // 00000000B6F8: D100009C 00A33937
	v_cmp_le_u32_e64 s[40:41], v32, v39                        // 00000000B700: D0CB0028 00024F20
	v_add_u32_e32 v32, 64, v32                                 // 00000000B708: 684040C0
	s_nop 0                                                    // 00000000B70C: BF800000
	v_cndmask_b32_e64 v157, v55, v157, s[40:41]                // 00000000B710: D100009D 00A33B37
	v_cmp_le_u32_e64 s[40:41], v33, v39                        // 00000000B718: D0CB0028 00024F21
	v_add_u32_e32 v33, 64, v33                                 // 00000000B720: 684242C0
	s_nop 0                                                    // 00000000B724: BF800000
	v_cndmask_b32_e64 v158, v55, v158, s[40:41]                // 00000000B728: D100009E 00A33D37
	v_cmp_le_u32_e64 s[40:41], v34, v39                        // 00000000B730: D0CB0028 00024F22
	v_add_u32_e32 v34, 64, v34                                 // 00000000B738: 684444C0
	s_nop 0                                                    // 00000000B73C: BF800000
	v_cndmask_b32_e64 v159, v55, v159, s[40:41]                // 00000000B740: D100009F 00A33F37

000000000000b748 <label_2553>:
	s_add_u32 s90, s91, s90                                    // 00000000B748: 805A5A5B
	s_nop 0                                                    // 00000000B74C: BF800000
	buffer_load_dwordx4 a[32:35], v25, s[16:19], 0 offen       // 00000000B750: E05C1000 80842019
	s_nop 8                                                    // 00000000B758: BF800008
	buffer_load_dwordx4 a[36:39], v25, s[16:19], 0 offen offset:1024// 00000000B75C: E05C1400 80842419
	v_mov_b32_e32 v50, v112                                    // 00000000B764: 7E640370
	v_max3_f32 v50, v112, v113, v50                            // 00000000B768: D1D30032 04CAE370
	v_max3_f32 v50, v114, v115, v50                            // 00000000B770: D1D30032 04CAE772
	v_max3_f32 v50, v116, v117, v50                            // 00000000B778: D1D30032 04CAEB74
	v_max3_f32 v50, v118, v119, v50                            // 00000000B780: D1D30032 04CAEF76
	v_max3_f32 v50, v120, v121, v50                            // 00000000B788: D1D30032 04CAF378
	v_max3_f32 v50, v122, v123, v50                            // 00000000B790: D1D30032 04CAF77A
	v_max3_f32 v50, v124, v125, v50                            // 00000000B798: D1D30032 04CAFB7C
	v_max3_f32 v50, v126, v127, v50                            // 00000000B7A0: D1D30032 04CAFF7E
	ds_write_b32 v11, v50                                      // 00000000B7A8: D81A0000 0000320B
	buffer_load_dwordx4 a[40:43], v25, s[16:19], 0 offen offset:2048// 00000000B7B0: E05C1800 80842819
	s_waitcnt lgkmcnt(0)                                       // 00000000B7B8: BF8CC07F
	s_barrier                                                  // 00000000B7BC: BF8A0000
	ds_read_b32 v64, v10                                       // 00000000B7C0: D86C0000 4000000A
	buffer_load_dwordx4 a[44:47], v25, s[16:19], 0 offen offset:3072// 00000000B7C8: E05C1C00 80842C19
	ds_read_b32 v65, v10 offset:64                             // 00000000B7D0: D86C0040 4100000A
	ds_read_b32 v66, v10 offset:128                            // 00000000B7D8: D86C0080 4200000A
	ds_read_b32 v67, v10 offset:192                            // 00000000B7E0: D86C00C0 4300000A
	ds_read_b32 v68, v10 offset:256                            // 00000000B7E8: D86C0100 4400000A
	ds_read_b32 v69, v10 offset:320                            // 00000000B7F0: D86C0140 4500000A
	ds_read_b32 v70, v10 offset:384                            // 00000000B7F8: D86C0180 4600000A
	ds_read_b32 v71, v10 offset:448                            // 00000000B800: D86C01C0 4700000A
	ds_read_b32 v72, v10 offset:512                            // 00000000B808: D86C0200 4800000A
	buffer_load_dwordx4 a[48:51], v26, s[16:19], 0 offen       // 00000000B810: E05C1000 8084301A
	ds_read_b32 v73, v10 offset:576                            // 00000000B818: D86C0240 4900000A
	ds_read_b32 v74, v10 offset:640                            // 00000000B820: D86C0280 4A00000A
	ds_read_b32 v75, v10 offset:704                            // 00000000B828: D86C02C0 4B00000A
	ds_read_b32 v76, v10 offset:768                            // 00000000B830: D86C0300 4C00000A
	ds_read_b32 v77, v10 offset:832                            // 00000000B838: D86C0340 4D00000A
	ds_read_b32 v78, v10 offset:896                            // 00000000B840: D86C0380 4E00000A
	ds_read_b32 v79, v10 offset:960                            // 00000000B848: D86C03C0 4F00000A
	buffer_load_dwordx4 a[52:55], v26, s[16:19], 0 offen offset:1024// 00000000B850: E05C1400 8084341A
	buffer_load_dwordx4 a[56:59], v26, s[16:19], 0 offen offset:2048// 00000000B858: E05C1800 8084381A
	s_waitcnt lgkmcnt(0)                                       // 00000000B860: BF8CC07F
	v_max3_f32 v50, v64, v65, v50                              // 00000000B864: D1D30032 04CA8340
	v_max3_f32 v50, v66, v67, v50                              // 00000000B86C: D1D30032 04CA8742
	v_max3_f32 v50, v68, v69, v50                              // 00000000B874: D1D30032 04CA8B44
	v_max3_f32 v50, v70, v71, v50                              // 00000000B87C: D1D30032 04CA8F46
	v_max3_f32 v50, v72, v73, v50                              // 00000000B884: D1D30032 04CA9348
	v_max3_f32 v50, v74, v75, v50                              // 00000000B88C: D1D30032 04CA974A
	v_max3_f32 v50, v76, v77, v50                              // 00000000B894: D1D30032 04CA9B4C
	v_max3_f32 v50, v78, v79, v50                              // 00000000B89C: D1D30032 04CA9F4E
	buffer_load_dwordx4 a[60:63], v26, s[16:19], 0 offen offset:3072// 00000000B8A4: E05C1C00 80843C1A
	v_cmp_eq_u32_e64 s[40:41], v55, v14                        // 00000000B8AC: D0CA0028 00021D37
	s_nop 1                                                    // 00000000B8B4: BF800001
	v_max_f32_e32 v16, v50, v14                                // 00000000B8B8: 16201D32
	v_sub_f32_e32 v51, v14, v16                                // 00000000B8BC: 0466210E
	v_cndmask_b32_e64 v51, v51, 0, s[40:41]                    // 00000000B8C0: D1000033 00A10133
	v_mov_b32_e32 v14, v16                                     // 00000000B8C8: 7E1C0310
	v_mul_f32_e32 v53, s64, v16                                // 00000000B8CC: 0A6A2040
	v_mul_f32_e32 v51, s64, v51                                // 00000000B8D0: 0A666640
	v_exp_f32_e32 v51, v51                                     // 00000000B8D4: 7E664133
	buffer_load_dwordx4 a[128:131], v192, s[20:23], 0 offen    // 00000000B8D8: E05C1000 808580C0
	v_fma_f32 v112, v112, s64, -v53                            // 00000000B8E0: D1CB0070 84D48170
	v_fma_f32 v113, v113, s64, -v53                            // 00000000B8E8: D1CB0071 84D48171
	v_fma_f32 v114, v114, s64, -v53                            // 00000000B8F0: D1CB0072 84D48172
	v_fma_f32 v115, v115, s64, -v53                            // 00000000B8F8: D1CB0073 84D48173
	v_fma_f32 v116, v116, s64, -v53                            // 00000000B900: D1CB0074 84D48174
	v_fma_f32 v117, v117, s64, -v53                            // 00000000B908: D1CB0075 84D48175
	v_fma_f32 v118, v118, s64, -v53                            // 00000000B910: D1CB0076 84D48176
	v_fma_f32 v119, v119, s64, -v53                            // 00000000B918: D1CB0077 84D48177
	v_fma_f32 v120, v120, s64, -v53                            // 00000000B920: D1CB0078 84D48178
	v_fma_f32 v121, v121, s64, -v53                            // 00000000B928: D1CB0079 84D48179
	v_fma_f32 v122, v122, s64, -v53                            // 00000000B930: D1CB007A 84D4817A
	v_fma_f32 v123, v123, s64, -v53                            // 00000000B938: D1CB007B 84D4817B
	v_fma_f32 v124, v124, s64, -v53                            // 00000000B940: D1CB007C 84D4817C
	v_fma_f32 v125, v125, s64, -v53                            // 00000000B948: D1CB007D 84D4817D
	v_fma_f32 v126, v126, s64, -v53                            // 00000000B950: D1CB007E 84D4817E
	v_fma_f32 v127, v127, s64, -v53                            // 00000000B958: D1CB007F 84D4817F
	v_exp_f32_e32 v112, v112                                   // 00000000B960: 7EE04170
	v_exp_f32_e32 v113, v113                                   // 00000000B964: 7EE24171
	v_exp_f32_e32 v114, v114                                   // 00000000B968: 7EE44172
	v_exp_f32_e32 v115, v115                                   // 00000000B96C: 7EE64173
	v_exp_f32_e32 v116, v116                                   // 00000000B970: 7EE84174
	v_exp_f32_e32 v117, v117                                   // 00000000B974: 7EEA4175
	v_exp_f32_e32 v118, v118                                   // 00000000B978: 7EEC4176
	v_exp_f32_e32 v119, v119                                   // 00000000B97C: 7EEE4177
	v_exp_f32_e32 v120, v120                                   // 00000000B980: 7EF04178
	v_exp_f32_e32 v121, v121                                   // 00000000B984: 7EF24179
	v_exp_f32_e32 v122, v122                                   // 00000000B988: 7EF4417A
	v_exp_f32_e32 v123, v123                                   // 00000000B98C: 7EF6417B
	v_exp_f32_e32 v124, v124                                   // 00000000B990: 7EF8417C
	v_exp_f32_e32 v125, v125                                   // 00000000B994: 7EFA417D
	v_exp_f32_e32 v126, v126                                   // 00000000B998: 7EFC417E
	v_exp_f32_e32 v127, v127                                   // 00000000B99C: 7EFE417F
	buffer_load_dwordx4 a[132:135], v193, s[20:23], 0 offen    // 00000000B9A0: E05C1000 808584C1
	v_mul_f32_e32 v43, v51, v43                                // 00000000B9A8: 0A565733
	v_mov_b32_e32 v45, v112                                    // 00000000B9AC: 7E5A0370
	v_add_f32_e32 v45, v113, v45                               // 00000000B9B0: 025A5B71
	v_add_f32_e32 v45, v114, v45                               // 00000000B9B4: 025A5B72
	v_add_f32_e32 v45, v115, v45                               // 00000000B9B8: 025A5B73
	v_add_f32_e32 v45, v116, v45                               // 00000000B9BC: 025A5B74
	v_add_f32_e32 v45, v117, v45                               // 00000000B9C0: 025A5B75
	v_add_f32_e32 v45, v118, v45                               // 00000000B9C4: 025A5B76
	v_add_f32_e32 v45, v119, v45                               // 00000000B9C8: 025A5B77
	v_add_f32_e32 v45, v120, v45                               // 00000000B9CC: 025A5B78
	v_add_f32_e32 v45, v121, v45                               // 00000000B9D0: 025A5B79
	v_add_f32_e32 v45, v122, v45                               // 00000000B9D4: 025A5B7A
	v_add_f32_e32 v45, v123, v45                               // 00000000B9D8: 025A5B7B
	v_add_f32_e32 v45, v124, v45                               // 00000000B9DC: 025A5B7C
	v_add_f32_e32 v45, v125, v45                               // 00000000B9E0: 025A5B7D
	v_add_f32_e32 v45, v126, v45                               // 00000000B9E4: 025A5B7E
	v_add_f32_e32 v45, v127, v45                               // 00000000B9E8: 025A5B7F
	v_add_f32_e32 v43, v45, v43                                // 00000000B9EC: 0256572D
	buffer_load_dwordx4 a[136:139], v194, s[20:23], 0 offen    // 00000000B9F0: E05C1000 808588C2
	v_cvt_pkrtz_f16_f32 v39, v112, v113                        // 00000000B9F8: D2960027 0002E370
	v_mov_b32_e32 v112, v39                                    // 00000000BA00: 7EE00327
	v_cvt_pkrtz_f16_f32 v39, v114, v115                        // 00000000BA04: D2960027 0002E772
	v_mov_b32_e32 v113, v39                                    // 00000000BA0C: 7EE20327
	v_cvt_pkrtz_f16_f32 v39, v116, v117                        // 00000000BA10: D2960027 0002EB74
	v_mov_b32_e32 v114, v39                                    // 00000000BA18: 7EE40327
	v_cvt_pkrtz_f16_f32 v39, v118, v119                        // 00000000BA1C: D2960027 0002EF76
	v_mov_b32_e32 v115, v39                                    // 00000000BA24: 7EE60327
	v_cvt_pkrtz_f16_f32 v39, v120, v121                        // 00000000BA28: D2960027 0002F378
	v_mov_b32_e32 v116, v39                                    // 00000000BA30: 7EE80327
	v_cvt_pkrtz_f16_f32 v39, v122, v123                        // 00000000BA34: D2960027 0002F77A
	v_mov_b32_e32 v117, v39                                    // 00000000BA3C: 7EEA0327
	v_cvt_pkrtz_f16_f32 v39, v124, v125                        // 00000000BA40: D2960027 0002FB7C
	v_mov_b32_e32 v118, v39                                    // 00000000BA48: 7EEC0327
	v_cvt_pkrtz_f16_f32 v39, v126, v127                        // 00000000BA4C: D2960027 0002FF7E
	v_mov_b32_e32 v119, v39                                    // 00000000BA54: 7EEE0327
	buffer_load_dwordx4 a[140:143], v195, s[20:23], 0 offen    // 00000000BA58: E05C1000 80858CC3
	buffer_load_dwordx4 a[144:147], v196, s[20:23], 0 offen    // 00000000BA60: E05C1000 808590C4
	ds_write_b64 v13, v[112:113] offset:4096                   // 00000000BA68: D89A1000 0000700D
	ds_write_b64 v13, v[114:115] offset:6144                   // 00000000BA70: D89A1800 0000720D
	ds_write_b64 v13, v[116:117] offset:8192                   // 00000000BA78: D89A2000 0000740D
	ds_write_b64 v13, v[118:119] offset:10240                  // 00000000BA80: D89A2800 0000760D
	buffer_load_dwordx4 a[148:151], v197, s[20:23], 0 offen    // 00000000BA88: E05C1000 808594C5
	s_waitcnt lgkmcnt(0)                                       // 00000000BA90: BF8CC07F
	s_barrier                                                  // 00000000BA94: BF8A0000
	ds_read_b64 v[112:113], v12 offset:4096                    // 00000000BA98: D8EC1000 7000000C
	ds_read_b64 v[114:115], v12 offset:4224                    // 00000000BAA0: D8EC1080 7200000C
	ds_read_b64 v[116:117], v12 offset:5120                    // 00000000BAA8: D8EC1400 7400000C
	ds_read_b64 v[118:119], v12 offset:5248                    // 00000000BAB0: D8EC1480 7600000C
	ds_read_b64 v[120:121], v12 offset:6144                    // 00000000BAB8: D8EC1800 7800000C
	ds_read_b64 v[122:123], v12 offset:6272                    // 00000000BAC0: D8EC1880 7A00000C
	ds_read_b64 v[124:125], v12 offset:7168                    // 00000000BAC8: D8EC1C00 7C00000C
	ds_read_b64 v[126:127], v12 offset:7296                    // 00000000BAD0: D8EC1C80 7E00000C
	ds_read_b64 v[128:129], v12 offset:8192                    // 00000000BAD8: D8EC2000 8000000C
	ds_read_b64 v[130:131], v12 offset:8320                    // 00000000BAE0: D8EC2080 8200000C
	ds_read_b64 v[132:133], v12 offset:9216                    // 00000000BAE8: D8EC2400 8400000C
	ds_read_b64 v[134:135], v12 offset:9344                    // 00000000BAF0: D8EC2480 8600000C
	ds_read_b64 v[136:137], v12 offset:10240                   // 00000000BAF8: D8EC2800 8800000C
	ds_read_b64 v[138:139], v12 offset:10368                   // 00000000BB00: D8EC2880 8A00000C
	ds_read_b64 v[140:141], v12 offset:11264                   // 00000000BB08: D8EC2C00 8C00000C
	ds_read_b64 v[142:143], v12 offset:11392                   // 00000000BB10: D8EC2C80 8E00000C
	buffer_load_dwordx4 a[152:155], v198, s[20:23], 0 offen    // 00000000BB18: E05C1000 808598C6
	buffer_load_dwordx4 a[156:159], v199, s[20:23], 0 offen    // 00000000BB20: E05C1000 80859CC7
	s_waitcnt lgkmcnt(0)                                       // 00000000BB28: BF8CC07F
	s_nop 8                                                    // 00000000BB2C: BF800008
	v_mov_b32_e32 v50, v144                                    // 00000000BB30: 7E640390
	v_max3_f32 v50, v144, v145, v50                            // 00000000BB34: D1D30032 04CB2390
	v_max3_f32 v50, v146, v147, v50                            // 00000000BB3C: D1D30032 04CB2792
	v_max3_f32 v50, v148, v149, v50                            // 00000000BB44: D1D30032 04CB2B94
	v_max3_f32 v50, v150, v151, v50                            // 00000000BB4C: D1D30032 04CB2F96
	v_max3_f32 v50, v152, v153, v50                            // 00000000BB54: D1D30032 04CB3398
	v_max3_f32 v50, v154, v155, v50                            // 00000000BB5C: D1D30032 04CB379A
	v_max3_f32 v50, v156, v157, v50                            // 00000000BB64: D1D30032 04CB3B9C
	v_max3_f32 v50, v158, v159, v50                            // 00000000BB6C: D1D30032 04CB3F9E
	ds_write_b32 v11, v50                                      // 00000000BB74: D81A0000 0000320B
	s_waitcnt lgkmcnt(0)                                       // 00000000BB7C: BF8CC07F
	s_barrier                                                  // 00000000BB80: BF8A0000
	ds_read_b32 v64, v10                                       // 00000000BB84: D86C0000 4000000A
	ds_read_b32 v65, v10 offset:64                             // 00000000BB8C: D86C0040 4100000A
	ds_read_b32 v66, v10 offset:128                            // 00000000BB94: D86C0080 4200000A
	ds_read_b32 v67, v10 offset:192                            // 00000000BB9C: D86C00C0 4300000A
	ds_read_b32 v68, v10 offset:256                            // 00000000BBA4: D86C0100 4400000A
	ds_read_b32 v69, v10 offset:320                            // 00000000BBAC: D86C0140 4500000A
	ds_read_b32 v70, v10 offset:384                            // 00000000BBB4: D86C0180 4600000A
	ds_read_b32 v71, v10 offset:448                            // 00000000BBBC: D86C01C0 4700000A
	ds_read_b32 v72, v10 offset:512                            // 00000000BBC4: D86C0200 4800000A
	ds_read_b32 v73, v10 offset:576                            // 00000000BBCC: D86C0240 4900000A
	ds_read_b32 v74, v10 offset:640                            // 00000000BBD4: D86C0280 4A00000A
	ds_read_b32 v75, v10 offset:704                            // 00000000BBDC: D86C02C0 4B00000A
	ds_read_b32 v76, v10 offset:768                            // 00000000BBE4: D86C0300 4C00000A
	ds_read_b32 v77, v10 offset:832                            // 00000000BBEC: D86C0340 4D00000A
	ds_read_b32 v78, v10 offset:896                            // 00000000BBF4: D86C0380 4E00000A
	ds_read_b32 v79, v10 offset:960                            // 00000000BBFC: D86C03C0 4F00000A
	s_waitcnt lgkmcnt(0)                                       // 00000000BC04: BF8CC07F
	v_max3_f32 v50, v64, v65, v50                              // 00000000BC08: D1D30032 04CA8340
	v_max3_f32 v50, v66, v67, v50                              // 00000000BC10: D1D30032 04CA8742
	v_max3_f32 v50, v68, v69, v50                              // 00000000BC18: D1D30032 04CA8B44
	v_max3_f32 v50, v70, v71, v50                              // 00000000BC20: D1D30032 04CA8F46
	v_max3_f32 v50, v72, v73, v50                              // 00000000BC28: D1D30032 04CA9348
	v_max3_f32 v50, v74, v75, v50                              // 00000000BC30: D1D30032 04CA974A
	v_max3_f32 v50, v76, v77, v50                              // 00000000BC38: D1D30032 04CA9B4C
	v_max3_f32 v50, v78, v79, v50                              // 00000000BC40: D1D30032 04CA9F4E
	v_cmp_eq_u32_e64 s[40:41], v55, v15                        // 00000000BC48: D0CA0028 00021F37
	s_nop 1                                                    // 00000000BC50: BF800001
	v_max_f32_e32 v16, v50, v15                                // 00000000BC54: 16201F32
	v_sub_f32_e32 v52, v15, v16                                // 00000000BC58: 0468210F
	v_cndmask_b32_e64 v52, v52, 0, s[40:41]                    // 00000000BC5C: D1000034 00A10134
	v_mov_b32_e32 v15, v16                                     // 00000000BC64: 7E1E0310
	v_mul_f32_e32 v53, s64, v16                                // 00000000BC68: 0A6A2040
	v_mul_f32_e32 v52, s64, v52                                // 00000000BC6C: 0A686840
	v_exp_f32_e32 v52, v52                                     // 00000000BC70: 7E684134
	v_fma_f32 v144, v144, s64, -v53                            // 00000000BC74: D1CB0090 84D48190
	v_fma_f32 v145, v145, s64, -v53                            // 00000000BC7C: D1CB0091 84D48191
	v_fma_f32 v146, v146, s64, -v53                            // 00000000BC84: D1CB0092 84D48192
	v_fma_f32 v147, v147, s64, -v53                            // 00000000BC8C: D1CB0093 84D48193
	v_fma_f32 v148, v148, s64, -v53                            // 00000000BC94: D1CB0094 84D48194
	v_fma_f32 v149, v149, s64, -v53                            // 00000000BC9C: D1CB0095 84D48195
	v_fma_f32 v150, v150, s64, -v53                            // 00000000BCA4: D1CB0096 84D48196
	v_fma_f32 v151, v151, s64, -v53                            // 00000000BCAC: D1CB0097 84D48197
	v_fma_f32 v152, v152, s64, -v53                            // 00000000BCB4: D1CB0098 84D48198
	v_fma_f32 v153, v153, s64, -v53                            // 00000000BCBC: D1CB0099 84D48199
	v_fma_f32 v154, v154, s64, -v53                            // 00000000BCC4: D1CB009A 84D4819A
	v_fma_f32 v155, v155, s64, -v53                            // 00000000BCCC: D1CB009B 84D4819B
	v_fma_f32 v156, v156, s64, -v53                            // 00000000BCD4: D1CB009C 84D4819C
	v_fma_f32 v157, v157, s64, -v53                            // 00000000BCDC: D1CB009D 84D4819D
	v_fma_f32 v158, v158, s64, -v53                            // 00000000BCE4: D1CB009E 84D4819E
	v_fma_f32 v159, v159, s64, -v53                            // 00000000BCEC: D1CB009F 84D4819F
	v_exp_f32_e32 v144, v144                                   // 00000000BCF4: 7F204190
	v_exp_f32_e32 v145, v145                                   // 00000000BCF8: 7F224191
	v_exp_f32_e32 v146, v146                                   // 00000000BCFC: 7F244192
	v_exp_f32_e32 v147, v147                                   // 00000000BD00: 7F264193
	v_exp_f32_e32 v148, v148                                   // 00000000BD04: 7F284194
	v_exp_f32_e32 v149, v149                                   // 00000000BD08: 7F2A4195
	v_exp_f32_e32 v150, v150                                   // 00000000BD0C: 7F2C4196
	v_exp_f32_e32 v151, v151                                   // 00000000BD10: 7F2E4197
	v_exp_f32_e32 v152, v152                                   // 00000000BD14: 7F304198
	v_exp_f32_e32 v153, v153                                   // 00000000BD18: 7F324199
	v_exp_f32_e32 v154, v154                                   // 00000000BD1C: 7F34419A
	v_exp_f32_e32 v155, v155                                   // 00000000BD20: 7F36419B
	v_exp_f32_e32 v156, v156                                   // 00000000BD24: 7F38419C
	v_exp_f32_e32 v157, v157                                   // 00000000BD28: 7F3A419D
	v_exp_f32_e32 v158, v158                                   // 00000000BD2C: 7F3C419E
	v_exp_f32_e32 v159, v159                                   // 00000000BD30: 7F3E419F
	v_mul_f32_e32 v44, v52, v44                                // 00000000BD34: 0A585934
	v_mov_b32_e32 v45, v144                                    // 00000000BD38: 7E5A0390
	v_add_f32_e32 v45, v145, v45                               // 00000000BD3C: 025A5B91
	v_add_f32_e32 v45, v146, v45                               // 00000000BD40: 025A5B92
	v_add_f32_e32 v45, v147, v45                               // 00000000BD44: 025A5B93
	v_add_f32_e32 v45, v148, v45                               // 00000000BD48: 025A5B94
	v_add_f32_e32 v45, v149, v45                               // 00000000BD4C: 025A5B95
	v_add_f32_e32 v45, v150, v45                               // 00000000BD50: 025A5B96
	v_add_f32_e32 v45, v151, v45                               // 00000000BD54: 025A5B97
	v_add_f32_e32 v45, v152, v45                               // 00000000BD58: 025A5B98
	v_add_f32_e32 v45, v153, v45                               // 00000000BD5C: 025A5B99
	v_add_f32_e32 v45, v154, v45                               // 00000000BD60: 025A5B9A
	v_add_f32_e32 v45, v155, v45                               // 00000000BD64: 025A5B9B
	v_add_f32_e32 v45, v156, v45                               // 00000000BD68: 025A5B9C
	v_add_f32_e32 v45, v157, v45                               // 00000000BD6C: 025A5B9D
	v_add_f32_e32 v45, v158, v45                               // 00000000BD70: 025A5B9E
	v_add_f32_e32 v45, v159, v45                               // 00000000BD74: 025A5B9F
	v_add_f32_e32 v44, v45, v44                                // 00000000BD78: 0258592D
	v_cvt_pkrtz_f16_f32 v39, v144, v145                        // 00000000BD7C: D2960027 00032390
	v_mov_b32_e32 v144, v39                                    // 00000000BD84: 7F200327
	v_cvt_pkrtz_f16_f32 v39, v146, v147                        // 00000000BD88: D2960027 00032792
	v_mov_b32_e32 v145, v39                                    // 00000000BD90: 7F220327
	v_cvt_pkrtz_f16_f32 v39, v148, v149                        // 00000000BD94: D2960027 00032B94
	v_mov_b32_e32 v146, v39                                    // 00000000BD9C: 7F240327
	v_cvt_pkrtz_f16_f32 v39, v150, v151                        // 00000000BDA0: D2960027 00032F96
	v_mov_b32_e32 v147, v39                                    // 00000000BDA8: 7F260327
	v_cvt_pkrtz_f16_f32 v39, v152, v153                        // 00000000BDAC: D2960027 00033398
	v_mov_b32_e32 v148, v39                                    // 00000000BDB4: 7F280327
	v_cvt_pkrtz_f16_f32 v39, v154, v155                        // 00000000BDB8: D2960027 0003379A
	v_mov_b32_e32 v149, v39                                    // 00000000BDC0: 7F2A0327
	v_cvt_pkrtz_f16_f32 v39, v156, v157                        // 00000000BDC4: D2960027 00033B9C
	v_mov_b32_e32 v150, v39                                    // 00000000BDCC: 7F2C0327
	v_cvt_pkrtz_f16_f32 v39, v158, v159                        // 00000000BDD0: D2960027 00033F9E
	v_mov_b32_e32 v151, v39                                    // 00000000BDD8: 7F2E0327
	ds_write_b64 v13, v[144:145] offset:4096                   // 00000000BDDC: D89A1000 0000900D
	ds_write_b64 v13, v[146:147] offset:6144                   // 00000000BDE4: D89A1800 0000920D
	ds_write_b64 v13, v[148:149] offset:8192                   // 00000000BDEC: D89A2000 0000940D
	ds_write_b64 v13, v[150:151] offset:10240                  // 00000000BDF4: D89A2800 0000960D
	s_waitcnt lgkmcnt(0)                                       // 00000000BDFC: BF8CC07F
	s_barrier                                                  // 00000000BE00: BF8A0000
	ds_read_b64 v[144:145], v12 offset:4096                    // 00000000BE04: D8EC1000 9000000C
	ds_read_b64 v[146:147], v12 offset:4224                    // 00000000BE0C: D8EC1080 9200000C
	ds_read_b64 v[148:149], v12 offset:5120                    // 00000000BE14: D8EC1400 9400000C
	ds_read_b64 v[150:151], v12 offset:5248                    // 00000000BE1C: D8EC1480 9600000C
	ds_read_b64 v[152:153], v12 offset:6144                    // 00000000BE24: D8EC1800 9800000C
	ds_read_b64 v[154:155], v12 offset:6272                    // 00000000BE2C: D8EC1880 9A00000C
	ds_read_b64 v[156:157], v12 offset:7168                    // 00000000BE34: D8EC1C00 9C00000C
	ds_read_b64 v[158:159], v12 offset:7296                    // 00000000BE3C: D8EC1C80 9E00000C
	ds_read_b64 v[160:161], v12 offset:8192                    // 00000000BE44: D8EC2000 A000000C
	ds_read_b64 v[162:163], v12 offset:8320                    // 00000000BE4C: D8EC2080 A200000C
	ds_read_b64 v[164:165], v12 offset:9216                    // 00000000BE54: D8EC2400 A400000C
	ds_read_b64 v[166:167], v12 offset:9344                    // 00000000BE5C: D8EC2480 A600000C
	ds_read_b64 v[168:169], v12 offset:10240                   // 00000000BE64: D8EC2800 A800000C
	ds_read_b64 v[170:171], v12 offset:10368                   // 00000000BE6C: D8EC2880 AA00000C
	ds_read_b64 v[172:173], v12 offset:11264                   // 00000000BE74: D8EC2C00 AC00000C
	ds_read_b64 v[174:175], v12 offset:11392                   // 00000000BE7C: D8EC2C80 AE00000C
	s_waitcnt lgkmcnt(0)                                       // 00000000BE84: BF8CC07F
	v_mul_f32_e32 v176, v51, v176                              // 00000000BE88: 0B616133
	v_mul_f32_e32 v177, v51, v177                              // 00000000BE8C: 0B636333
	v_mul_f32_e32 v178, v51, v178                              // 00000000BE90: 0B656533
	v_mul_f32_e32 v179, v51, v179                              // 00000000BE94: 0B676733
	v_mul_f32_e32 v180, v51, v180                              // 00000000BE98: 0B696933
	v_mul_f32_e32 v181, v51, v181                              // 00000000BE9C: 0B6B6B33
	v_mul_f32_e32 v182, v51, v182                              // 00000000BEA0: 0B6D6D33
	v_mul_f32_e32 v183, v51, v183                              // 00000000BEA4: 0B6F6F33
	v_mul_f32_e32 v184, v52, v184                              // 00000000BEA8: 0B717134
	v_mul_f32_e32 v185, v52, v185                              // 00000000BEAC: 0B737334
	v_mul_f32_e32 v186, v52, v186                              // 00000000BEB0: 0B757534
	v_mul_f32_e32 v187, v52, v187                              // 00000000BEB4: 0B777734
	v_mul_f32_e32 v188, v52, v188                              // 00000000BEB8: 0B797934
	v_mul_f32_e32 v189, v52, v189                              // 00000000BEBC: 0B7B7B34
	v_mul_f32_e32 v190, v52, v190                              // 00000000BEC0: 0B7D7D34
	v_mul_f32_e32 v191, v52, v191                              // 00000000BEC4: 0B7F7F34
	s_waitcnt vmcnt(24)                                        // 00000000BEC8: BF8C4F78
	v_mfma_f32_16x16x16_f16 v[176:179], a[192:193], v[112:113], v[176:179]// 00000000BECC: D3CD00B0 0EC2E1C0
	v_mfma_f32_16x16x16_f16 v[176:179], a[194:195], v[114:115], v[176:179]// 00000000BED4: D3CD00B0 0EC2E5C2
	buffer_load_dwordx4 a[160:163], v192, s[20:23], 0 offen offset:1024// 00000000BEDC: E05C1400 8085A0C0
	v_mfma_f32_16x16x16_f16 v[176:179], a[196:197], v[116:117], v[176:179]// 00000000BEE4: D3CD00B0 0EC2E9C4
	v_mfma_f32_16x16x16_f16 v[176:179], a[198:199], v[118:119], v[176:179]// 00000000BEEC: D3CD00B0 0EC2EDC6
	v_mfma_f32_16x16x16_f16 v[176:179], a[200:201], v[120:121], v[176:179]// 00000000BEF4: D3CD00B0 0EC2F1C8
	v_mfma_f32_16x16x16_f16 v[176:179], a[202:203], v[122:123], v[176:179]// 00000000BEFC: D3CD00B0 0EC2F5CA
	buffer_load_dwordx4 a[164:167], v193, s[20:23], 0 offen offset:1024// 00000000BF04: E05C1400 8085A4C1
	v_mfma_f32_16x16x16_f16 v[176:179], a[204:205], v[124:125], v[176:179]// 00000000BF0C: D3CD00B0 0EC2F9CC
	v_mfma_f32_16x16x16_f16 v[176:179], a[206:207], v[126:127], v[176:179]// 00000000BF14: D3CD00B0 0EC2FDCE
	v_mfma_f32_16x16x16_f16 v[176:179], a[208:209], v[128:129], v[176:179]// 00000000BF1C: D3CD00B0 0EC301D0
	v_mfma_f32_16x16x16_f16 v[176:179], a[210:211], v[130:131], v[176:179]// 00000000BF24: D3CD00B0 0EC305D2
	buffer_load_dwordx4 a[168:171], v194, s[20:23], 0 offen offset:1024// 00000000BF2C: E05C1400 8085A8C2
	v_mfma_f32_16x16x16_f16 v[176:179], a[212:213], v[132:133], v[176:179]// 00000000BF34: D3CD00B0 0EC309D4
	v_mfma_f32_16x16x16_f16 v[176:179], a[214:215], v[134:135], v[176:179]// 00000000BF3C: D3CD00B0 0EC30DD6
	v_mfma_f32_16x16x16_f16 v[176:179], a[216:217], v[136:137], v[176:179]// 00000000BF44: D3CD00B0 0EC311D8
	v_mfma_f32_16x16x16_f16 v[176:179], a[218:219], v[138:139], v[176:179]// 00000000BF4C: D3CD00B0 0EC315DA
	buffer_load_dwordx4 a[172:175], v195, s[20:23], 0 offen offset:1024// 00000000BF54: E05C1400 8085ACC3
	v_mfma_f32_16x16x16_f16 v[176:179], a[220:221], v[140:141], v[176:179]// 00000000BF5C: D3CD00B0 0EC319DC
	v_mfma_f32_16x16x16_f16 v[176:179], a[222:223], v[142:143], v[176:179]// 00000000BF64: D3CD00B0 0EC31DDE
	v_mfma_f32_16x16x16_f16 v[180:183], a[224:225], v[112:113], v[180:183]// 00000000BF6C: D3CD00B4 0ED2E1E0
	v_mfma_f32_16x16x16_f16 v[180:183], a[226:227], v[114:115], v[180:183]// 00000000BF74: D3CD00B4 0ED2E5E2
	buffer_load_dwordx4 a[176:179], v196, s[20:23], 0 offen offset:1024// 00000000BF7C: E05C1400 8085B0C4
	v_mfma_f32_16x16x16_f16 v[180:183], a[228:229], v[116:117], v[180:183]// 00000000BF84: D3CD00B4 0ED2E9E4
	v_mfma_f32_16x16x16_f16 v[180:183], a[230:231], v[118:119], v[180:183]// 00000000BF8C: D3CD00B4 0ED2EDE6
	v_mfma_f32_16x16x16_f16 v[180:183], a[232:233], v[120:121], v[180:183]// 00000000BF94: D3CD00B4 0ED2F1E8
	v_mfma_f32_16x16x16_f16 v[180:183], a[234:235], v[122:123], v[180:183]// 00000000BF9C: D3CD00B4 0ED2F5EA
	buffer_load_dwordx4 a[180:183], v197, s[20:23], 0 offen offset:1024// 00000000BFA4: E05C1400 8085B4C5
	v_mfma_f32_16x16x16_f16 v[180:183], a[236:237], v[124:125], v[180:183]// 00000000BFAC: D3CD00B4 0ED2F9EC
	v_mfma_f32_16x16x16_f16 v[180:183], a[238:239], v[126:127], v[180:183]// 00000000BFB4: D3CD00B4 0ED2FDEE
	v_mfma_f32_16x16x16_f16 v[180:183], a[240:241], v[128:129], v[180:183]// 00000000BFBC: D3CD00B4 0ED301F0
	v_mfma_f32_16x16x16_f16 v[180:183], a[242:243], v[130:131], v[180:183]// 00000000BFC4: D3CD00B4 0ED305F2
	buffer_load_dwordx4 a[184:187], v198, s[20:23], 0 offen offset:1024// 00000000BFCC: E05C1400 8085B8C6
	v_mfma_f32_16x16x16_f16 v[180:183], a[244:245], v[132:133], v[180:183]// 00000000BFD4: D3CD00B4 0ED309F4
	v_mfma_f32_16x16x16_f16 v[180:183], a[246:247], v[134:135], v[180:183]// 00000000BFDC: D3CD00B4 0ED30DF6
	v_mfma_f32_16x16x16_f16 v[180:183], a[248:249], v[136:137], v[180:183]// 00000000BFE4: D3CD00B4 0ED311F8
	v_mfma_f32_16x16x16_f16 v[180:183], a[250:251], v[138:139], v[180:183]// 00000000BFEC: D3CD00B4 0ED315FA
	buffer_load_dwordx4 a[188:191], v199, s[20:23], 0 offen offset:1024// 00000000BFF4: E05C1400 8085BCC7
	v_mfma_f32_16x16x16_f16 v[180:183], a[252:253], v[140:141], v[180:183]// 00000000BFFC: D3CD00B4 0ED319FC
	v_mfma_f32_16x16x16_f16 v[180:183], a[254:255], v[142:143], v[180:183]// 00000000C004: D3CD00B4 0ED31DFE
	v_mfma_f32_16x16x16_f16 v[184:187], a[192:193], v[144:145], v[184:187]// 00000000C00C: D3CD00B8 0EE321C0
	v_mfma_f32_16x16x16_f16 v[184:187], a[194:195], v[146:147], v[184:187]// 00000000C014: D3CD00B8 0EE325C2
	v_mfma_f32_16x16x16_f16 v[184:187], a[196:197], v[148:149], v[184:187]// 00000000C01C: D3CD00B8 0EE329C4
	v_mfma_f32_16x16x16_f16 v[184:187], a[198:199], v[150:151], v[184:187]// 00000000C024: D3CD00B8 0EE32DC6
	v_mfma_f32_16x16x16_f16 v[184:187], a[200:201], v[152:153], v[184:187]// 00000000C02C: D3CD00B8 0EE331C8
	v_mfma_f32_16x16x16_f16 v[184:187], a[202:203], v[154:155], v[184:187]// 00000000C034: D3CD00B8 0EE335CA
	v_mfma_f32_16x16x16_f16 v[184:187], a[204:205], v[156:157], v[184:187]// 00000000C03C: D3CD00B8 0EE339CC
	v_mfma_f32_16x16x16_f16 v[184:187], a[206:207], v[158:159], v[184:187]// 00000000C044: D3CD00B8 0EE33DCE
	v_mfma_f32_16x16x16_f16 v[184:187], a[208:209], v[160:161], v[184:187]// 00000000C04C: D3CD00B8 0EE341D0
	v_mfma_f32_16x16x16_f16 v[184:187], a[210:211], v[162:163], v[184:187]// 00000000C054: D3CD00B8 0EE345D2
	v_mfma_f32_16x16x16_f16 v[184:187], a[212:213], v[164:165], v[184:187]// 00000000C05C: D3CD00B8 0EE349D4
	v_mfma_f32_16x16x16_f16 v[184:187], a[214:215], v[166:167], v[184:187]// 00000000C064: D3CD00B8 0EE34DD6
	v_mfma_f32_16x16x16_f16 v[184:187], a[216:217], v[168:169], v[184:187]// 00000000C06C: D3CD00B8 0EE351D8
	v_mfma_f32_16x16x16_f16 v[184:187], a[218:219], v[170:171], v[184:187]// 00000000C074: D3CD00B8 0EE355DA
	v_mfma_f32_16x16x16_f16 v[184:187], a[220:221], v[172:173], v[184:187]// 00000000C07C: D3CD00B8 0EE359DC
	v_mfma_f32_16x16x16_f16 v[184:187], a[222:223], v[174:175], v[184:187]// 00000000C084: D3CD00B8 0EE35DDE
	v_mfma_f32_16x16x16_f16 v[188:191], a[224:225], v[144:145], v[188:191]// 00000000C08C: D3CD00BC 0EF321E0
	v_mfma_f32_16x16x16_f16 v[188:191], a[226:227], v[146:147], v[188:191]// 00000000C094: D3CD00BC 0EF325E2
	v_mfma_f32_16x16x16_f16 v[188:191], a[228:229], v[148:149], v[188:191]// 00000000C09C: D3CD00BC 0EF329E4
	v_mfma_f32_16x16x16_f16 v[188:191], a[230:231], v[150:151], v[188:191]// 00000000C0A4: D3CD00BC 0EF32DE6
	v_mfma_f32_16x16x16_f16 v[188:191], a[232:233], v[152:153], v[188:191]// 00000000C0AC: D3CD00BC 0EF331E8
	v_mfma_f32_16x16x16_f16 v[188:191], a[234:235], v[154:155], v[188:191]// 00000000C0B4: D3CD00BC 0EF335EA
	v_mfma_f32_16x16x16_f16 v[188:191], a[236:237], v[156:157], v[188:191]// 00000000C0BC: D3CD00BC 0EF339EC
	v_mfma_f32_16x16x16_f16 v[188:191], a[238:239], v[158:159], v[188:191]// 00000000C0C4: D3CD00BC 0EF33DEE
	v_mfma_f32_16x16x16_f16 v[188:191], a[240:241], v[160:161], v[188:191]// 00000000C0CC: D3CD00BC 0EF341F0
	v_mfma_f32_16x16x16_f16 v[188:191], a[242:243], v[162:163], v[188:191]// 00000000C0D4: D3CD00BC 0EF345F2
	v_mfma_f32_16x16x16_f16 v[188:191], a[244:245], v[164:165], v[188:191]// 00000000C0DC: D3CD00BC 0EF349F4
	v_mfma_f32_16x16x16_f16 v[188:191], a[246:247], v[166:167], v[188:191]// 00000000C0E4: D3CD00BC 0EF34DF6
	v_mfma_f32_16x16x16_f16 v[188:191], a[248:249], v[168:169], v[188:191]// 00000000C0EC: D3CD00BC 0EF351F8
	v_mfma_f32_16x16x16_f16 v[188:191], a[250:251], v[170:171], v[188:191]// 00000000C0F4: D3CD00BC 0EF355FA
	v_mfma_f32_16x16x16_f16 v[188:191], a[252:253], v[172:173], v[188:191]// 00000000C0FC: D3CD00BC 0EF359FC
	v_mfma_f32_16x16x16_f16 v[188:191], a[254:255], v[174:175], v[188:191]// 00000000C104: D3CD00BC 0EF35DFE
	s_lshr_b32 s60, s70, 4                                     // 00000000C10C: 8F3C8446
	s_add_u32 s60, 48, s60                                     // 00000000C110: 803C3CB0
	s_cmp_ge_u32 s60, s73                                      // 00000000C114: BF09493C
	s_cselect_b32 s56, 0, s56                                  // 00000000C118: 85383880
	v_mul_u32_u24_dpp v39, v18, v54 row_newbcast:0 row_mask:0xf bank_mask:0xf// 00000000C11C: 104E6CFA FF015012
	v_mul_u32_u24_dpp v40, v18, v54 row_newbcast:4 row_mask:0xf bank_mask:0xf// 00000000C124: 10506CFA FF015412
	v_mul_u32_u24_dpp v41, v18, v54 row_newbcast:8 row_mask:0xf bank_mask:0xf// 00000000C12C: 10526CFA FF015812
	v_mul_u32_u24_dpp v42, v18, v54 row_newbcast:12 row_mask:0xf bank_mask:0xf// 00000000C134: 10546CFA FF015C12
	v_add_u32_e32 v27, v39, v6                                 // 00000000C13C: 68360D27
	v_add_u32_e32 v28, v40, v6                                 // 00000000C140: 68380D28
	v_add_u32_e32 v29, v41, v6                                 // 00000000C144: 683A0D29
	v_add_u32_e32 v30, v42, v6                                 // 00000000C148: 683C0D2A
	v_mul_u32_u24_dpp v39, v18, v54 row_newbcast:1 row_mask:0xf bank_mask:0xf// 00000000C14C: 104E6CFA FF015112
	v_mul_u32_u24_dpp v40, v18, v54 row_newbcast:2 row_mask:0xf bank_mask:0xf// 00000000C154: 10506CFA FF015212
	v_mul_u32_u24_dpp v41, v18, v54 row_newbcast:5 row_mask:0xf bank_mask:0xf// 00000000C15C: 10526CFA FF015512
	v_mul_u32_u24_dpp v42, v18, v54 row_newbcast:6 row_mask:0xf bank_mask:0xf// 00000000C164: 10546CFA FF015612
	v_add_u32_e32 v200, v39, v7                                // 00000000C16C: 69900F27
	v_add_u32_e32 v201, v40, v7                                // 00000000C170: 69920F28
	v_add_u32_e32 v202, v41, v7                                // 00000000C174: 69940F29
	v_add_u32_e32 v203, v42, v7                                // 00000000C178: 69960F2A
	v_mul_u32_u24_dpp v39, v18, v54 row_newbcast:9 row_mask:0xf bank_mask:0xf// 00000000C17C: 104E6CFA FF015912
	v_mul_u32_u24_dpp v40, v18, v54 row_newbcast:10 row_mask:0xf bank_mask:0xf// 00000000C184: 10506CFA FF015A12
	v_mul_u32_u24_dpp v41, v18, v54 row_newbcast:13 row_mask:0xf bank_mask:0xf// 00000000C18C: 10526CFA FF015D12
	v_mul_u32_u24_dpp v42, v18, v54 row_newbcast:7 row_mask:0xf bank_mask:0xf// 00000000C194: 10546CFA FF015712
	v_add_u32_e32 v204, v39, v7                                // 00000000C19C: 69980F27
	v_add_u32_e32 v205, v40, v7                                // 00000000C1A0: 699A0F28
	v_add_u32_e32 v206, v41, v7                                // 00000000C1A4: 699C0F29
	v_add_u32_e32 v207, v42, v7                                // 00000000C1A8: 699E0F2A
	v_add_u32_e32 v1, s56, v1                                  // 00000000C1AC: 68020238
	s_addk_i32 s70, 0x100                                      // 00000000C1B0: B7460100
	s_cmp_lt_i32 s70, s71                                      // 00000000C1B4: BF044746
	s_cbranch_scc0 label_27F1                                  // 00000000C1B8: BF840001
	s_branch label_1FBA                                        // 00000000C1BC: BF82F7C9

000000000000c1c0 <label_27F1>:
	s_nop 0                                                    // 00000000C1C0: BF800000
	s_nop 0                                                    // 00000000C1C4: BF800000
	s_branch label_302B                                        // 00000000C1C8: BF820837

000000000000c1cc <label_27F4>:
	s_waitcnt vmcnt(16) lgkmcnt(0)                             // 00000000C1CC: BF8C4070
	v_mfma_f32_16x16x16_f16 v[112:115], a[0:1], v[80:81], 0    // 00000000C1D0: D3CD0070 0A02A100
	buffer_load_dwordx4 a[64:67], v27, s[16:19], 0 offen       // 00000000C1D8: E05C1000 8084401B
	v_mfma_f32_16x16x16_f16 v[112:115], a[2:3], v[82:83], v[112:115]// 00000000C1E0: D3CD0070 0DC2A502
	v_mfma_f32_16x16x16_f16 v[112:115], a[4:5], v[84:85], v[112:115]// 00000000C1E8: D3CD0070 0DC2A904
	buffer_load_dword v17, v1, s[24:27], 0 offen               // 00000000C1F0: E0501000 80061101
	v_mfma_f32_16x16x16_f16 v[112:115], a[6:7], v[86:87], v[112:115]// 00000000C1F8: D3CD0070 0DC2AD06
	v_mfma_f32_16x16x16_f16 v[112:115], a[8:9], v[88:89], v[112:115]// 00000000C200: D3CD0070 0DC2B108
	buffer_load_dwordx4 a[68:71], v27, s[16:19], 0 offen offset:1024// 00000000C208: E05C1400 8084441B
	v_mfma_f32_16x16x16_f16 v[112:115], a[10:11], v[90:91], v[112:115]// 00000000C210: D3CD0070 0DC2B50A
	v_mfma_f32_16x16x16_f16 v[112:115], a[12:13], v[92:93], v[112:115]// 00000000C218: D3CD0070 0DC2B90C
	v_mfma_f32_16x16x16_f16 v[112:115], a[14:15], v[94:95], v[112:115]// 00000000C220: D3CD0070 0DC2BD0E
	v_mfma_f32_16x16x16_f16 v[116:119], a[16:17], v[80:81], 0  // 00000000C228: D3CD0074 0A02A110
	buffer_load_dwordx4 a[72:75], v27, s[16:19], 0 offen offset:2048// 00000000C230: E05C1800 8084481B
	v_mfma_f32_16x16x16_f16 v[116:119], a[18:19], v[82:83], v[116:119]// 00000000C238: D3CD0074 0DD2A512
	v_mfma_f32_16x16x16_f16 v[116:119], a[20:21], v[84:85], v[116:119]// 00000000C240: D3CD0074 0DD2A914
	v_mfma_f32_16x16x16_f16 v[116:119], a[22:23], v[86:87], v[116:119]// 00000000C248: D3CD0074 0DD2AD16
	v_mfma_f32_16x16x16_f16 v[116:119], a[24:25], v[88:89], v[116:119]// 00000000C250: D3CD0074 0DD2B118
	buffer_load_dwordx4 a[76:79], v27, s[16:19], 0 offen offset:3072// 00000000C258: E05C1C00 80844C1B
	v_mfma_f32_16x16x16_f16 v[116:119], a[26:27], v[90:91], v[116:119]// 00000000C260: D3CD0074 0DD2B51A
	v_mfma_f32_16x16x16_f16 v[116:119], a[28:29], v[92:93], v[116:119]// 00000000C268: D3CD0074 0DD2B91C
	v_mfma_f32_16x16x16_f16 v[116:119], a[30:31], v[94:95], v[116:119]// 00000000C270: D3CD0074 0DD2BD1E
	v_mfma_f32_16x16x16_f16 v[120:123], a[32:33], v[80:81], 0  // 00000000C278: D3CD0078 0A02A120
	buffer_load_dwordx4 a[80:83], v28, s[16:19], 0 offen       // 00000000C280: E05C1000 8084501C
	v_mfma_f32_16x16x16_f16 v[120:123], a[34:35], v[82:83], v[120:123]// 00000000C288: D3CD0078 0DE2A522
	v_mfma_f32_16x16x16_f16 v[120:123], a[36:37], v[84:85], v[120:123]// 00000000C290: D3CD0078 0DE2A924
	v_mfma_f32_16x16x16_f16 v[120:123], a[38:39], v[86:87], v[120:123]// 00000000C298: D3CD0078 0DE2AD26
	v_mfma_f32_16x16x16_f16 v[120:123], a[40:41], v[88:89], v[120:123]// 00000000C2A0: D3CD0078 0DE2B128
	buffer_load_dwordx4 a[84:87], v28, s[16:19], 0 offen offset:1024// 00000000C2A8: E05C1400 8084541C
	v_mfma_f32_16x16x16_f16 v[120:123], a[42:43], v[90:91], v[120:123]// 00000000C2B0: D3CD0078 0DE2B52A
	v_mfma_f32_16x16x16_f16 v[120:123], a[44:45], v[92:93], v[120:123]// 00000000C2B8: D3CD0078 0DE2B92C
	v_mfma_f32_16x16x16_f16 v[120:123], a[46:47], v[94:95], v[120:123]// 00000000C2C0: D3CD0078 0DE2BD2E
	v_mfma_f32_16x16x16_f16 v[124:127], a[48:49], v[80:81], 0  // 00000000C2C8: D3CD007C 0A02A130
	buffer_load_dwordx4 a[88:91], v28, s[16:19], 0 offen offset:2048// 00000000C2D0: E05C1800 8084581C
	v_mfma_f32_16x16x16_f16 v[124:127], a[50:51], v[82:83], v[124:127]// 00000000C2D8: D3CD007C 0DF2A532
	v_mfma_f32_16x16x16_f16 v[124:127], a[52:53], v[84:85], v[124:127]// 00000000C2E0: D3CD007C 0DF2A934
	v_mfma_f32_16x16x16_f16 v[124:127], a[54:55], v[86:87], v[124:127]// 00000000C2E8: D3CD007C 0DF2AD36
	v_mfma_f32_16x16x16_f16 v[124:127], a[56:57], v[88:89], v[124:127]// 00000000C2F0: D3CD007C 0DF2B138
	buffer_load_dwordx4 a[92:95], v28, s[16:19], 0 offen offset:3072// 00000000C2F8: E05C1C00 80845C1C
	v_mfma_f32_16x16x16_f16 v[124:127], a[58:59], v[90:91], v[124:127]// 00000000C300: D3CD007C 0DF2B53A
	v_mfma_f32_16x16x16_f16 v[124:127], a[60:61], v[92:93], v[124:127]// 00000000C308: D3CD007C 0DF2B93C
	v_mfma_f32_16x16x16_f16 v[124:127], a[62:63], v[94:95], v[124:127]// 00000000C310: D3CD007C 0DF2BD3E
	s_cmp_le_i32 s90, s89                                      // 00000000C318: BF05595A
	s_cbranch_scc1 label_28BC                                  // 00000000C31C: BF850073
	v_mov_b32_e32 v55, 0xff800000                              // 00000000C320: 7E6E02FF FF800000
	s_mov_b32 s60, s90                                         // 00000000C328: BEBC005A
	s_add_u32 s61, s89, 0xff                                   // 00000000C32C: 803DFF59 000000FF
	v_mov_b32_e32 v39, s61                                     // 00000000C334: 7E4E023D
	v_lshrrev_b32_e32 v31, 4, v0                               // 00000000C338: 203E0084
	v_mul_i32_i24_e32 v31, 4, v31                              // 00000000C33C: 0C3E3E84
	v_add_u32_e32 v31, s60, v31                                // 00000000C340: 683E3E3C
	v_and_b32_e32 v40, 15, v0                                  // 00000000C344: 2650008F
	v_lshrrev_b32_e32 v40, 3, v40                              // 00000000C348: 20505083
	s_mov_b32 s61, 0                                           // 00000000C34C: BEBD0080
	s_mul_i32 s60, 16, s7                                      // 00000000C350: 923C0790
	v_add_u32_e32 v40, s61, v40                                // 00000000C354: 6850503D
	v_sub_u32_e32 v31, v31, v40                                // 00000000C358: 6A3E511F
	v_add_u32_e32 v31, s60, v31                                // 00000000C35C: 683E3E3C
	v_add_u32_e32 v32, 1, v31                                  // 00000000C360: 68403E81
	v_add_u32_e32 v33, 2, v31                                  // 00000000C364: 68423E82
	v_add_u32_e32 v34, 3, v31                                  // 00000000C368: 68443E83
	v_cmp_le_u32_e64 s[40:41], v31, v39                        // 00000000C36C: D0CB0028 00024F1F
	v_add_u32_e32 v31, 64, v31                                 // 00000000C374: 683E3EC0
	s_nop 0                                                    // 00000000C378: BF800000
	v_cndmask_b32_e64 v112, v55, v112, s[40:41]                // 00000000C37C: D1000070 00A2E137
	v_cmp_le_u32_e64 s[40:41], v32, v39                        // 00000000C384: D0CB0028 00024F20
	v_add_u32_e32 v32, 64, v32                                 // 00000000C38C: 684040C0
	s_nop 0                                                    // 00000000C390: BF800000
	v_cndmask_b32_e64 v113, v55, v113, s[40:41]                // 00000000C394: D1000071 00A2E337
	v_cmp_le_u32_e64 s[40:41], v33, v39                        // 00000000C39C: D0CB0028 00024F21
	v_add_u32_e32 v33, 64, v33                                 // 00000000C3A4: 684242C0
	s_nop 0                                                    // 00000000C3A8: BF800000
	v_cndmask_b32_e64 v114, v55, v114, s[40:41]                // 00000000C3AC: D1000072 00A2E537
	v_cmp_le_u32_e64 s[40:41], v34, v39                        // 00000000C3B4: D0CB0028 00024F22
	v_add_u32_e32 v34, 64, v34                                 // 00000000C3BC: 684444C0
	s_nop 0                                                    // 00000000C3C0: BF800000
	v_cndmask_b32_e64 v115, v55, v115, s[40:41]                // 00000000C3C4: D1000073 00A2E737
	v_cmp_le_u32_e64 s[40:41], v31, v39                        // 00000000C3CC: D0CB0028 00024F1F
	v_add_u32_e32 v31, 64, v31                                 // 00000000C3D4: 683E3EC0
	s_nop 0                                                    // 00000000C3D8: BF800000
	v_cndmask_b32_e64 v116, v55, v116, s[40:41]                // 00000000C3DC: D1000074 00A2E937
	v_cmp_le_u32_e64 s[40:41], v32, v39                        // 00000000C3E4: D0CB0028 00024F20
	v_add_u32_e32 v32, 64, v32                                 // 00000000C3EC: 684040C0
	s_nop 0                                                    // 00000000C3F0: BF800000
	v_cndmask_b32_e64 v117, v55, v117, s[40:41]                // 00000000C3F4: D1000075 00A2EB37
	v_cmp_le_u32_e64 s[40:41], v33, v39                        // 00000000C3FC: D0CB0028 00024F21
	v_add_u32_e32 v33, 64, v33                                 // 00000000C404: 684242C0
	s_nop 0                                                    // 00000000C408: BF800000
	v_cndmask_b32_e64 v118, v55, v118, s[40:41]                // 00000000C40C: D1000076 00A2ED37
	v_cmp_le_u32_e64 s[40:41], v34, v39                        // 00000000C414: D0CB0028 00024F22
	v_add_u32_e32 v34, 64, v34                                 // 00000000C41C: 684444C0
	s_nop 0                                                    // 00000000C420: BF800000
	v_cndmask_b32_e64 v119, v55, v119, s[40:41]                // 00000000C424: D1000077 00A2EF37
	v_cmp_le_u32_e64 s[40:41], v31, v39                        // 00000000C42C: D0CB0028 00024F1F
	v_add_u32_e32 v31, 64, v31                                 // 00000000C434: 683E3EC0
	s_nop 0                                                    // 00000000C438: BF800000
	v_cndmask_b32_e64 v120, v55, v120, s[40:41]                // 00000000C43C: D1000078 00A2F137
	v_cmp_le_u32_e64 s[40:41], v32, v39                        // 00000000C444: D0CB0028 00024F20
	v_add_u32_e32 v32, 64, v32                                 // 00000000C44C: 684040C0
	s_nop 0                                                    // 00000000C450: BF800000
	v_cndmask_b32_e64 v121, v55, v121, s[40:41]                // 00000000C454: D1000079 00A2F337
	v_cmp_le_u32_e64 s[40:41], v33, v39                        // 00000000C45C: D0CB0028 00024F21
	v_add_u32_e32 v33, 64, v33                                 // 00000000C464: 684242C0
	s_nop 0                                                    // 00000000C468: BF800000
	v_cndmask_b32_e64 v122, v55, v122, s[40:41]                // 00000000C46C: D100007A 00A2F537
	v_cmp_le_u32_e64 s[40:41], v34, v39                        // 00000000C474: D0CB0028 00024F22
	v_add_u32_e32 v34, 64, v34                                 // 00000000C47C: 684444C0
	s_nop 0                                                    // 00000000C480: BF800000
	v_cndmask_b32_e64 v123, v55, v123, s[40:41]                // 00000000C484: D100007B 00A2F737
	v_cmp_le_u32_e64 s[40:41], v31, v39                        // 00000000C48C: D0CB0028 00024F1F
	v_add_u32_e32 v31, 64, v31                                 // 00000000C494: 683E3EC0
	s_nop 0                                                    // 00000000C498: BF800000
	v_cndmask_b32_e64 v124, v55, v124, s[40:41]                // 00000000C49C: D100007C 00A2F937
	v_cmp_le_u32_e64 s[40:41], v32, v39                        // 00000000C4A4: D0CB0028 00024F20
	v_add_u32_e32 v32, 64, v32                                 // 00000000C4AC: 684040C0
	s_nop 0                                                    // 00000000C4B0: BF800000
	v_cndmask_b32_e64 v125, v55, v125, s[40:41]                // 00000000C4B4: D100007D 00A2FB37
	v_cmp_le_u32_e64 s[40:41], v33, v39                        // 00000000C4BC: D0CB0028 00024F21
	v_add_u32_e32 v33, 64, v33                                 // 00000000C4C4: 684242C0
	s_nop 0                                                    // 00000000C4C8: BF800000
	v_cndmask_b32_e64 v126, v55, v126, s[40:41]                // 00000000C4CC: D100007E 00A2FD37
	v_cmp_le_u32_e64 s[40:41], v34, v39                        // 00000000C4D4: D0CB0028 00024F22
	v_add_u32_e32 v34, 64, v34                                 // 00000000C4DC: 684444C0
	s_nop 0                                                    // 00000000C4E0: BF800000
	v_cndmask_b32_e64 v127, v55, v127, s[40:41]                // 00000000C4E4: D100007F 00A2FF37

000000000000c4ec <label_28BC>:
	s_waitcnt vmcnt(16) lgkmcnt(0)                             // 00000000C4EC: BF8C4070
	v_mfma_f32_16x16x16_f16 v[144:147], a[0:1], v[96:97], 0    // 00000000C4F0: D3CD0090 0A02C100
	v_mfma_f32_16x16x16_f16 v[144:147], a[2:3], v[98:99], v[144:147]// 00000000C4F8: D3CD0090 0E42C502
	v_mfma_f32_16x16x16_f16 v[144:147], a[4:5], v[100:101], v[144:147]// 00000000C500: D3CD0090 0E42C904
	v_mfma_f32_16x16x16_f16 v[144:147], a[6:7], v[102:103], v[144:147]// 00000000C508: D3CD0090 0E42CD06
	v_mfma_f32_16x16x16_f16 v[144:147], a[8:9], v[104:105], v[144:147]// 00000000C510: D3CD0090 0E42D108
	v_mfma_f32_16x16x16_f16 v[144:147], a[10:11], v[106:107], v[144:147]// 00000000C518: D3CD0090 0E42D50A
	v_mfma_f32_16x16x16_f16 v[144:147], a[12:13], v[108:109], v[144:147]// 00000000C520: D3CD0090 0E42D90C
	v_mfma_f32_16x16x16_f16 v[144:147], a[14:15], v[110:111], v[144:147]// 00000000C528: D3CD0090 0E42DD0E
	v_mfma_f32_16x16x16_f16 v[148:151], a[16:17], v[96:97], 0  // 00000000C530: D3CD0094 0A02C110
	v_mfma_f32_16x16x16_f16 v[148:151], a[18:19], v[98:99], v[148:151]// 00000000C538: D3CD0094 0E52C512
	v_mfma_f32_16x16x16_f16 v[148:151], a[20:21], v[100:101], v[148:151]// 00000000C540: D3CD0094 0E52C914
	v_mfma_f32_16x16x16_f16 v[148:151], a[22:23], v[102:103], v[148:151]// 00000000C548: D3CD0094 0E52CD16
	v_mfma_f32_16x16x16_f16 v[148:151], a[24:25], v[104:105], v[148:151]// 00000000C550: D3CD0094 0E52D118
	v_mfma_f32_16x16x16_f16 v[148:151], a[26:27], v[106:107], v[148:151]// 00000000C558: D3CD0094 0E52D51A
	v_mfma_f32_16x16x16_f16 v[148:151], a[28:29], v[108:109], v[148:151]// 00000000C560: D3CD0094 0E52D91C
	v_mfma_f32_16x16x16_f16 v[148:151], a[30:31], v[110:111], v[148:151]// 00000000C568: D3CD0094 0E52DD1E
	v_mfma_f32_16x16x16_f16 v[152:155], a[32:33], v[96:97], 0  // 00000000C570: D3CD0098 0A02C120
	v_mfma_f32_16x16x16_f16 v[152:155], a[34:35], v[98:99], v[152:155]// 00000000C578: D3CD0098 0E62C522
	v_mfma_f32_16x16x16_f16 v[152:155], a[36:37], v[100:101], v[152:155]// 00000000C580: D3CD0098 0E62C924
	v_mfma_f32_16x16x16_f16 v[152:155], a[38:39], v[102:103], v[152:155]// 00000000C588: D3CD0098 0E62CD26
	v_mfma_f32_16x16x16_f16 v[152:155], a[40:41], v[104:105], v[152:155]// 00000000C590: D3CD0098 0E62D128
	v_mfma_f32_16x16x16_f16 v[152:155], a[42:43], v[106:107], v[152:155]// 00000000C598: D3CD0098 0E62D52A
	v_mfma_f32_16x16x16_f16 v[152:155], a[44:45], v[108:109], v[152:155]// 00000000C5A0: D3CD0098 0E62D92C
	v_mfma_f32_16x16x16_f16 v[152:155], a[46:47], v[110:111], v[152:155]// 00000000C5A8: D3CD0098 0E62DD2E
	v_mfma_f32_16x16x16_f16 v[156:159], a[48:49], v[96:97], 0  // 00000000C5B0: D3CD009C 0A02C130
	v_mfma_f32_16x16x16_f16 v[156:159], a[50:51], v[98:99], v[156:159]// 00000000C5B8: D3CD009C 0E72C532
	v_mfma_f32_16x16x16_f16 v[156:159], a[52:53], v[100:101], v[156:159]// 00000000C5C0: D3CD009C 0E72C934
	v_mfma_f32_16x16x16_f16 v[156:159], a[54:55], v[102:103], v[156:159]// 00000000C5C8: D3CD009C 0E72CD36
	v_mfma_f32_16x16x16_f16 v[156:159], a[56:57], v[104:105], v[156:159]// 00000000C5D0: D3CD009C 0E72D138
	v_mfma_f32_16x16x16_f16 v[156:159], a[58:59], v[106:107], v[156:159]// 00000000C5D8: D3CD009C 0E72D53A
	v_mfma_f32_16x16x16_f16 v[156:159], a[60:61], v[108:109], v[156:159]// 00000000C5E0: D3CD009C 0E72D93C
	v_mfma_f32_16x16x16_f16 v[156:159], a[62:63], v[110:111], v[156:159]// 00000000C5E8: D3CD009C 0E72DD3E
	s_cmp_le_i32 s90, s89                                      // 00000000C5F0: BF05595A
	s_cbranch_scc1 label_2972                                  // 00000000C5F4: BF850073
	v_mov_b32_e32 v55, 0xff800000                              // 00000000C5F8: 7E6E02FF FF800000
	s_mov_b32 s60, s90                                         // 00000000C600: BEBC005A
	s_add_u32 s61, s89, 0xff                                   // 00000000C604: 803DFF59 000000FF
	v_mov_b32_e32 v39, s61                                     // 00000000C60C: 7E4E023D
	v_lshrrev_b32_e32 v31, 4, v0                               // 00000000C610: 203E0084
	v_mul_i32_i24_e32 v31, 4, v31                              // 00000000C614: 0C3E3E84
	v_add_u32_e32 v31, s60, v31                                // 00000000C618: 683E3E3C
	v_and_b32_e32 v40, 15, v0                                  // 00000000C61C: 2650008F
	v_lshrrev_b32_e32 v40, 3, v40                              // 00000000C620: 20505083
	s_mov_b32 s61, 2                                           // 00000000C624: BEBD0082
	s_mul_i32 s60, 16, s7                                      // 00000000C628: 923C0790
	v_add_u32_e32 v40, s61, v40                                // 00000000C62C: 6850503D
	v_sub_u32_e32 v31, v31, v40                                // 00000000C630: 6A3E511F
	v_add_u32_e32 v31, s60, v31                                // 00000000C634: 683E3E3C
	v_add_u32_e32 v32, 1, v31                                  // 00000000C638: 68403E81
	v_add_u32_e32 v33, 2, v31                                  // 00000000C63C: 68423E82
	v_add_u32_e32 v34, 3, v31                                  // 00000000C640: 68443E83
	v_cmp_le_u32_e64 s[40:41], v31, v39                        // 00000000C644: D0CB0028 00024F1F
	v_add_u32_e32 v31, 64, v31                                 // 00000000C64C: 683E3EC0
	s_nop 0                                                    // 00000000C650: BF800000
	v_cndmask_b32_e64 v144, v55, v144, s[40:41]                // 00000000C654: D1000090 00A32137
	v_cmp_le_u32_e64 s[40:41], v32, v39                        // 00000000C65C: D0CB0028 00024F20
	v_add_u32_e32 v32, 64, v32                                 // 00000000C664: 684040C0
	s_nop 0                                                    // 00000000C668: BF800000
	v_cndmask_b32_e64 v145, v55, v145, s[40:41]                // 00000000C66C: D1000091 00A32337
	v_cmp_le_u32_e64 s[40:41], v33, v39                        // 00000000C674: D0CB0028 00024F21
	v_add_u32_e32 v33, 64, v33                                 // 00000000C67C: 684242C0
	s_nop 0                                                    // 00000000C680: BF800000
	v_cndmask_b32_e64 v146, v55, v146, s[40:41]                // 00000000C684: D1000092 00A32537
	v_cmp_le_u32_e64 s[40:41], v34, v39                        // 00000000C68C: D0CB0028 00024F22
	v_add_u32_e32 v34, 64, v34                                 // 00000000C694: 684444C0
	s_nop 0                                                    // 00000000C698: BF800000
	v_cndmask_b32_e64 v147, v55, v147, s[40:41]                // 00000000C69C: D1000093 00A32737
	v_cmp_le_u32_e64 s[40:41], v31, v39                        // 00000000C6A4: D0CB0028 00024F1F
	v_add_u32_e32 v31, 64, v31                                 // 00000000C6AC: 683E3EC0
	s_nop 0                                                    // 00000000C6B0: BF800000
	v_cndmask_b32_e64 v148, v55, v148, s[40:41]                // 00000000C6B4: D1000094 00A32937
	v_cmp_le_u32_e64 s[40:41], v32, v39                        // 00000000C6BC: D0CB0028 00024F20
	v_add_u32_e32 v32, 64, v32                                 // 00000000C6C4: 684040C0
	s_nop 0                                                    // 00000000C6C8: BF800000
	v_cndmask_b32_e64 v149, v55, v149, s[40:41]                // 00000000C6CC: D1000095 00A32B37
	v_cmp_le_u32_e64 s[40:41], v33, v39                        // 00000000C6D4: D0CB0028 00024F21
	v_add_u32_e32 v33, 64, v33                                 // 00000000C6DC: 684242C0
	s_nop 0                                                    // 00000000C6E0: BF800000
	v_cndmask_b32_e64 v150, v55, v150, s[40:41]                // 00000000C6E4: D1000096 00A32D37
	v_cmp_le_u32_e64 s[40:41], v34, v39                        // 00000000C6EC: D0CB0028 00024F22
	v_add_u32_e32 v34, 64, v34                                 // 00000000C6F4: 684444C0
	s_nop 0                                                    // 00000000C6F8: BF800000
	v_cndmask_b32_e64 v151, v55, v151, s[40:41]                // 00000000C6FC: D1000097 00A32F37
	v_cmp_le_u32_e64 s[40:41], v31, v39                        // 00000000C704: D0CB0028 00024F1F
	v_add_u32_e32 v31, 64, v31                                 // 00000000C70C: 683E3EC0
	s_nop 0                                                    // 00000000C710: BF800000
	v_cndmask_b32_e64 v152, v55, v152, s[40:41]                // 00000000C714: D1000098 00A33137
	v_cmp_le_u32_e64 s[40:41], v32, v39                        // 00000000C71C: D0CB0028 00024F20
	v_add_u32_e32 v32, 64, v32                                 // 00000000C724: 684040C0
	s_nop 0                                                    // 00000000C728: BF800000
	v_cndmask_b32_e64 v153, v55, v153, s[40:41]                // 00000000C72C: D1000099 00A33337
	v_cmp_le_u32_e64 s[40:41], v33, v39                        // 00000000C734: D0CB0028 00024F21
	v_add_u32_e32 v33, 64, v33                                 // 00000000C73C: 684242C0
	s_nop 0                                                    // 00000000C740: BF800000
	v_cndmask_b32_e64 v154, v55, v154, s[40:41]                // 00000000C744: D100009A 00A33537
	v_cmp_le_u32_e64 s[40:41], v34, v39                        // 00000000C74C: D0CB0028 00024F22
	v_add_u32_e32 v34, 64, v34                                 // 00000000C754: 684444C0
	s_nop 0                                                    // 00000000C758: BF800000
	v_cndmask_b32_e64 v155, v55, v155, s[40:41]                // 00000000C75C: D100009B 00A33737
	v_cmp_le_u32_e64 s[40:41], v31, v39                        // 00000000C764: D0CB0028 00024F1F
	v_add_u32_e32 v31, 64, v31                                 // 00000000C76C: 683E3EC0
	s_nop 0                                                    // 00000000C770: BF800000
	v_cndmask_b32_e64 v156, v55, v156, s[40:41]                // 00000000C774: D100009C 00A33937
	v_cmp_le_u32_e64 s[40:41], v32, v39                        // 00000000C77C: D0CB0028 00024F20
	v_add_u32_e32 v32, 64, v32                                 // 00000000C784: 684040C0
	s_nop 0                                                    // 00000000C788: BF800000
	v_cndmask_b32_e64 v157, v55, v157, s[40:41]                // 00000000C78C: D100009D 00A33B37
	v_cmp_le_u32_e64 s[40:41], v33, v39                        // 00000000C794: D0CB0028 00024F21
	v_add_u32_e32 v33, 64, v33                                 // 00000000C79C: 684242C0
	s_nop 0                                                    // 00000000C7A0: BF800000
	v_cndmask_b32_e64 v158, v55, v158, s[40:41]                // 00000000C7A4: D100009E 00A33D37
	v_cmp_le_u32_e64 s[40:41], v34, v39                        // 00000000C7AC: D0CB0028 00024F22
	v_add_u32_e32 v34, 64, v34                                 // 00000000C7B4: 684444C0
	s_nop 0                                                    // 00000000C7B8: BF800000
	v_cndmask_b32_e64 v159, v55, v159, s[40:41]                // 00000000C7BC: D100009F 00A33F37

000000000000c7c4 <label_2972>:
	s_add_u32 s90, s91, s90                                    // 00000000C7C4: 805A5A5B
	s_nop 0                                                    // 00000000C7C8: BF800000
	buffer_load_dwordx4 a[96:99], v29, s[16:19], 0 offen       // 00000000C7CC: E05C1000 8084601D
	s_nop 8                                                    // 00000000C7D4: BF800008
	buffer_load_dwordx4 a[100:103], v29, s[16:19], 0 offen offset:1024// 00000000C7D8: E05C1400 8084641D
	v_mov_b32_e32 v50, v112                                    // 00000000C7E0: 7E640370
	v_max3_f32 v50, v112, v113, v50                            // 00000000C7E4: D1D30032 04CAE370
	v_max3_f32 v50, v114, v115, v50                            // 00000000C7EC: D1D30032 04CAE772
	v_max3_f32 v50, v116, v117, v50                            // 00000000C7F4: D1D30032 04CAEB74
	v_max3_f32 v50, v118, v119, v50                            // 00000000C7FC: D1D30032 04CAEF76
	v_max3_f32 v50, v120, v121, v50                            // 00000000C804: D1D30032 04CAF378
	v_max3_f32 v50, v122, v123, v50                            // 00000000C80C: D1D30032 04CAF77A
	v_max3_f32 v50, v124, v125, v50                            // 00000000C814: D1D30032 04CAFB7C
	v_max3_f32 v50, v126, v127, v50                            // 00000000C81C: D1D30032 04CAFF7E
	ds_write_b32 v11, v50                                      // 00000000C824: D81A0000 0000320B
	buffer_load_dwordx4 a[104:107], v29, s[16:19], 0 offen offset:2048// 00000000C82C: E05C1800 8084681D
	s_waitcnt lgkmcnt(0)                                       // 00000000C834: BF8CC07F
	s_barrier                                                  // 00000000C838: BF8A0000
	ds_read_b32 v64, v10                                       // 00000000C83C: D86C0000 4000000A
	buffer_load_dwordx4 a[108:111], v29, s[16:19], 0 offen offset:3072// 00000000C844: E05C1C00 80846C1D
	ds_read_b32 v65, v10 offset:64                             // 00000000C84C: D86C0040 4100000A
	ds_read_b32 v66, v10 offset:128                            // 00000000C854: D86C0080 4200000A
	ds_read_b32 v67, v10 offset:192                            // 00000000C85C: D86C00C0 4300000A
	ds_read_b32 v68, v10 offset:256                            // 00000000C864: D86C0100 4400000A
	ds_read_b32 v69, v10 offset:320                            // 00000000C86C: D86C0140 4500000A
	ds_read_b32 v70, v10 offset:384                            // 00000000C874: D86C0180 4600000A
	ds_read_b32 v71, v10 offset:448                            // 00000000C87C: D86C01C0 4700000A
	ds_read_b32 v72, v10 offset:512                            // 00000000C884: D86C0200 4800000A
	buffer_load_dwordx4 a[112:115], v30, s[16:19], 0 offen     // 00000000C88C: E05C1000 8084701E
	ds_read_b32 v73, v10 offset:576                            // 00000000C894: D86C0240 4900000A
	ds_read_b32 v74, v10 offset:640                            // 00000000C89C: D86C0280 4A00000A
	ds_read_b32 v75, v10 offset:704                            // 00000000C8A4: D86C02C0 4B00000A
	ds_read_b32 v76, v10 offset:768                            // 00000000C8AC: D86C0300 4C00000A
	ds_read_b32 v77, v10 offset:832                            // 00000000C8B4: D86C0340 4D00000A
	ds_read_b32 v78, v10 offset:896                            // 00000000C8BC: D86C0380 4E00000A
	ds_read_b32 v79, v10 offset:960                            // 00000000C8C4: D86C03C0 4F00000A
	buffer_load_dwordx4 a[116:119], v30, s[16:19], 0 offen offset:1024// 00000000C8CC: E05C1400 8084741E
	buffer_load_dwordx4 a[120:123], v30, s[16:19], 0 offen offset:2048// 00000000C8D4: E05C1800 8084781E
	s_waitcnt lgkmcnt(0)                                       // 00000000C8DC: BF8CC07F
	v_max3_f32 v50, v64, v65, v50                              // 00000000C8E0: D1D30032 04CA8340
	v_max3_f32 v50, v66, v67, v50                              // 00000000C8E8: D1D30032 04CA8742
	v_max3_f32 v50, v68, v69, v50                              // 00000000C8F0: D1D30032 04CA8B44
	v_max3_f32 v50, v70, v71, v50                              // 00000000C8F8: D1D30032 04CA8F46
	v_max3_f32 v50, v72, v73, v50                              // 00000000C900: D1D30032 04CA9348
	v_max3_f32 v50, v74, v75, v50                              // 00000000C908: D1D30032 04CA974A
	v_max3_f32 v50, v76, v77, v50                              // 00000000C910: D1D30032 04CA9B4C
	v_max3_f32 v50, v78, v79, v50                              // 00000000C918: D1D30032 04CA9F4E
	buffer_load_dwordx4 a[124:127], v30, s[16:19], 0 offen offset:3072// 00000000C920: E05C1C00 80847C1E
	v_cmp_eq_u32_e64 s[40:41], v55, v14                        // 00000000C928: D0CA0028 00021D37
	s_nop 1                                                    // 00000000C930: BF800001
	v_max_f32_e32 v16, v50, v14                                // 00000000C934: 16201D32
	v_sub_f32_e32 v51, v14, v16                                // 00000000C938: 0466210E
	v_cndmask_b32_e64 v51, v51, 0, s[40:41]                    // 00000000C93C: D1000033 00A10133
	v_mov_b32_e32 v14, v16                                     // 00000000C944: 7E1C0310
	v_mul_f32_e32 v53, s64, v16                                // 00000000C948: 0A6A2040
	v_mul_f32_e32 v51, s64, v51                                // 00000000C94C: 0A666640
	v_exp_f32_e32 v51, v51                                     // 00000000C950: 7E664133
	buffer_load_dwordx4 a[192:195], v200, s[20:23], 0 offen    // 00000000C954: E05C1000 8085C0C8
	v_fma_f32 v112, v112, s64, -v53                            // 00000000C95C: D1CB0070 84D48170
	v_fma_f32 v113, v113, s64, -v53                            // 00000000C964: D1CB0071 84D48171
	v_fma_f32 v114, v114, s64, -v53                            // 00000000C96C: D1CB0072 84D48172
	v_fma_f32 v115, v115, s64, -v53                            // 00000000C974: D1CB0073 84D48173
	v_fma_f32 v116, v116, s64, -v53                            // 00000000C97C: D1CB0074 84D48174
	v_fma_f32 v117, v117, s64, -v53                            // 00000000C984: D1CB0075 84D48175
	v_fma_f32 v118, v118, s64, -v53                            // 00000000C98C: D1CB0076 84D48176
	v_fma_f32 v119, v119, s64, -v53                            // 00000000C994: D1CB0077 84D48177
	v_fma_f32 v120, v120, s64, -v53                            // 00000000C99C: D1CB0078 84D48178
	v_fma_f32 v121, v121, s64, -v53                            // 00000000C9A4: D1CB0079 84D48179
	v_fma_f32 v122, v122, s64, -v53                            // 00000000C9AC: D1CB007A 84D4817A
	v_fma_f32 v123, v123, s64, -v53                            // 00000000C9B4: D1CB007B 84D4817B
	v_fma_f32 v124, v124, s64, -v53                            // 00000000C9BC: D1CB007C 84D4817C
	v_fma_f32 v125, v125, s64, -v53                            // 00000000C9C4: D1CB007D 84D4817D
	v_fma_f32 v126, v126, s64, -v53                            // 00000000C9CC: D1CB007E 84D4817E
	v_fma_f32 v127, v127, s64, -v53                            // 00000000C9D4: D1CB007F 84D4817F
	v_exp_f32_e32 v112, v112                                   // 00000000C9DC: 7EE04170
	v_exp_f32_e32 v113, v113                                   // 00000000C9E0: 7EE24171
	v_exp_f32_e32 v114, v114                                   // 00000000C9E4: 7EE44172
	v_exp_f32_e32 v115, v115                                   // 00000000C9E8: 7EE64173
	v_exp_f32_e32 v116, v116                                   // 00000000C9EC: 7EE84174
	v_exp_f32_e32 v117, v117                                   // 00000000C9F0: 7EEA4175
	v_exp_f32_e32 v118, v118                                   // 00000000C9F4: 7EEC4176
	v_exp_f32_e32 v119, v119                                   // 00000000C9F8: 7EEE4177
	v_exp_f32_e32 v120, v120                                   // 00000000C9FC: 7EF04178
	v_exp_f32_e32 v121, v121                                   // 00000000CA00: 7EF24179
	v_exp_f32_e32 v122, v122                                   // 00000000CA04: 7EF4417A
	v_exp_f32_e32 v123, v123                                   // 00000000CA08: 7EF6417B
	v_exp_f32_e32 v124, v124                                   // 00000000CA0C: 7EF8417C
	v_exp_f32_e32 v125, v125                                   // 00000000CA10: 7EFA417D
	v_exp_f32_e32 v126, v126                                   // 00000000CA14: 7EFC417E
	v_exp_f32_e32 v127, v127                                   // 00000000CA18: 7EFE417F
	buffer_load_dwordx4 a[196:199], v201, s[20:23], 0 offen    // 00000000CA1C: E05C1000 8085C4C9
	v_mul_f32_e32 v43, v51, v43                                // 00000000CA24: 0A565733
	v_mov_b32_e32 v45, v112                                    // 00000000CA28: 7E5A0370
	v_add_f32_e32 v45, v113, v45                               // 00000000CA2C: 025A5B71
	v_add_f32_e32 v45, v114, v45                               // 00000000CA30: 025A5B72
	v_add_f32_e32 v45, v115, v45                               // 00000000CA34: 025A5B73
	v_add_f32_e32 v45, v116, v45                               // 00000000CA38: 025A5B74
	v_add_f32_e32 v45, v117, v45                               // 00000000CA3C: 025A5B75
	v_add_f32_e32 v45, v118, v45                               // 00000000CA40: 025A5B76
	v_add_f32_e32 v45, v119, v45                               // 00000000CA44: 025A5B77
	v_add_f32_e32 v45, v120, v45                               // 00000000CA48: 025A5B78
	v_add_f32_e32 v45, v121, v45                               // 00000000CA4C: 025A5B79
	v_add_f32_e32 v45, v122, v45                               // 00000000CA50: 025A5B7A
	v_add_f32_e32 v45, v123, v45                               // 00000000CA54: 025A5B7B
	v_add_f32_e32 v45, v124, v45                               // 00000000CA58: 025A5B7C
	v_add_f32_e32 v45, v125, v45                               // 00000000CA5C: 025A5B7D
	v_add_f32_e32 v45, v126, v45                               // 00000000CA60: 025A5B7E
	v_add_f32_e32 v45, v127, v45                               // 00000000CA64: 025A5B7F
	v_add_f32_e32 v43, v45, v43                                // 00000000CA68: 0256572D
	buffer_load_dwordx4 a[200:203], v202, s[20:23], 0 offen    // 00000000CA6C: E05C1000 8085C8CA
	v_cvt_pkrtz_f16_f32 v39, v112, v113                        // 00000000CA74: D2960027 0002E370
	v_mov_b32_e32 v112, v39                                    // 00000000CA7C: 7EE00327
	v_cvt_pkrtz_f16_f32 v39, v114, v115                        // 00000000CA80: D2960027 0002E772
	v_mov_b32_e32 v113, v39                                    // 00000000CA88: 7EE20327
	v_cvt_pkrtz_f16_f32 v39, v116, v117                        // 00000000CA8C: D2960027 0002EB74
	v_mov_b32_e32 v114, v39                                    // 00000000CA94: 7EE40327
	v_cvt_pkrtz_f16_f32 v39, v118, v119                        // 00000000CA98: D2960027 0002EF76
	v_mov_b32_e32 v115, v39                                    // 00000000CAA0: 7EE60327
	v_cvt_pkrtz_f16_f32 v39, v120, v121                        // 00000000CAA4: D2960027 0002F378
	v_mov_b32_e32 v116, v39                                    // 00000000CAAC: 7EE80327
	v_cvt_pkrtz_f16_f32 v39, v122, v123                        // 00000000CAB0: D2960027 0002F77A
	v_mov_b32_e32 v117, v39                                    // 00000000CAB8: 7EEA0327
	v_cvt_pkrtz_f16_f32 v39, v124, v125                        // 00000000CABC: D2960027 0002FB7C
	v_mov_b32_e32 v118, v39                                    // 00000000CAC4: 7EEC0327
	v_cvt_pkrtz_f16_f32 v39, v126, v127                        // 00000000CAC8: D2960027 0002FF7E
	v_mov_b32_e32 v119, v39                                    // 00000000CAD0: 7EEE0327
	buffer_load_dwordx4 a[204:207], v203, s[20:23], 0 offen    // 00000000CAD4: E05C1000 8085CCCB
	buffer_load_dwordx4 a[208:211], v204, s[20:23], 0 offen    // 00000000CADC: E05C1000 8085D0CC
	ds_write_b64 v13, v[112:113] offset:4096                   // 00000000CAE4: D89A1000 0000700D
	ds_write_b64 v13, v[114:115] offset:6144                   // 00000000CAEC: D89A1800 0000720D
	ds_write_b64 v13, v[116:117] offset:8192                   // 00000000CAF4: D89A2000 0000740D
	ds_write_b64 v13, v[118:119] offset:10240                  // 00000000CAFC: D89A2800 0000760D
	buffer_load_dwordx4 a[212:215], v205, s[20:23], 0 offen    // 00000000CB04: E05C1000 8085D4CD
	s_waitcnt lgkmcnt(0)                                       // 00000000CB0C: BF8CC07F
	s_barrier                                                  // 00000000CB10: BF8A0000
	ds_read_b64 v[112:113], v12 offset:4096                    // 00000000CB14: D8EC1000 7000000C
	ds_read_b64 v[114:115], v12 offset:4224                    // 00000000CB1C: D8EC1080 7200000C
	ds_read_b64 v[116:117], v12 offset:5120                    // 00000000CB24: D8EC1400 7400000C
	ds_read_b64 v[118:119], v12 offset:5248                    // 00000000CB2C: D8EC1480 7600000C
	ds_read_b64 v[120:121], v12 offset:6144                    // 00000000CB34: D8EC1800 7800000C
	ds_read_b64 v[122:123], v12 offset:6272                    // 00000000CB3C: D8EC1880 7A00000C
	ds_read_b64 v[124:125], v12 offset:7168                    // 00000000CB44: D8EC1C00 7C00000C
	ds_read_b64 v[126:127], v12 offset:7296                    // 00000000CB4C: D8EC1C80 7E00000C
	ds_read_b64 v[128:129], v12 offset:8192                    // 00000000CB54: D8EC2000 8000000C
	ds_read_b64 v[130:131], v12 offset:8320                    // 00000000CB5C: D8EC2080 8200000C
	ds_read_b64 v[132:133], v12 offset:9216                    // 00000000CB64: D8EC2400 8400000C
	ds_read_b64 v[134:135], v12 offset:9344                    // 00000000CB6C: D8EC2480 8600000C
	ds_read_b64 v[136:137], v12 offset:10240                   // 00000000CB74: D8EC2800 8800000C
	ds_read_b64 v[138:139], v12 offset:10368                   // 00000000CB7C: D8EC2880 8A00000C
	ds_read_b64 v[140:141], v12 offset:11264                   // 00000000CB84: D8EC2C00 8C00000C
	ds_read_b64 v[142:143], v12 offset:11392                   // 00000000CB8C: D8EC2C80 8E00000C
	buffer_load_dwordx4 a[216:219], v206, s[20:23], 0 offen    // 00000000CB94: E05C1000 8085D8CE
	buffer_load_dwordx4 a[220:223], v207, s[20:23], 0 offen    // 00000000CB9C: E05C1000 8085DCCF
	s_waitcnt lgkmcnt(0)                                       // 00000000CBA4: BF8CC07F
	s_nop 8                                                    // 00000000CBA8: BF800008
	v_mov_b32_e32 v50, v144                                    // 00000000CBAC: 7E640390
	v_max3_f32 v50, v144, v145, v50                            // 00000000CBB0: D1D30032 04CB2390
	v_max3_f32 v50, v146, v147, v50                            // 00000000CBB8: D1D30032 04CB2792
	v_max3_f32 v50, v148, v149, v50                            // 00000000CBC0: D1D30032 04CB2B94
	v_max3_f32 v50, v150, v151, v50                            // 00000000CBC8: D1D30032 04CB2F96
	v_max3_f32 v50, v152, v153, v50                            // 00000000CBD0: D1D30032 04CB3398
	v_max3_f32 v50, v154, v155, v50                            // 00000000CBD8: D1D30032 04CB379A
	v_max3_f32 v50, v156, v157, v50                            // 00000000CBE0: D1D30032 04CB3B9C
	v_max3_f32 v50, v158, v159, v50                            // 00000000CBE8: D1D30032 04CB3F9E
	ds_write_b32 v11, v50                                      // 00000000CBF0: D81A0000 0000320B
	s_waitcnt lgkmcnt(0)                                       // 00000000CBF8: BF8CC07F
	s_barrier                                                  // 00000000CBFC: BF8A0000
	ds_read_b32 v64, v10                                       // 00000000CC00: D86C0000 4000000A
	ds_read_b32 v65, v10 offset:64                             // 00000000CC08: D86C0040 4100000A
	ds_read_b32 v66, v10 offset:128                            // 00000000CC10: D86C0080 4200000A
	ds_read_b32 v67, v10 offset:192                            // 00000000CC18: D86C00C0 4300000A
	ds_read_b32 v68, v10 offset:256                            // 00000000CC20: D86C0100 4400000A
	ds_read_b32 v69, v10 offset:320                            // 00000000CC28: D86C0140 4500000A
	ds_read_b32 v70, v10 offset:384                            // 00000000CC30: D86C0180 4600000A
	ds_read_b32 v71, v10 offset:448                            // 00000000CC38: D86C01C0 4700000A
	ds_read_b32 v72, v10 offset:512                            // 00000000CC40: D86C0200 4800000A
	ds_read_b32 v73, v10 offset:576                            // 00000000CC48: D86C0240 4900000A
	ds_read_b32 v74, v10 offset:640                            // 00000000CC50: D86C0280 4A00000A
	ds_read_b32 v75, v10 offset:704                            // 00000000CC58: D86C02C0 4B00000A
	ds_read_b32 v76, v10 offset:768                            // 00000000CC60: D86C0300 4C00000A
	ds_read_b32 v77, v10 offset:832                            // 00000000CC68: D86C0340 4D00000A
	ds_read_b32 v78, v10 offset:896                            // 00000000CC70: D86C0380 4E00000A
	ds_read_b32 v79, v10 offset:960                            // 00000000CC78: D86C03C0 4F00000A
	s_waitcnt lgkmcnt(0)                                       // 00000000CC80: BF8CC07F
	v_max3_f32 v50, v64, v65, v50                              // 00000000CC84: D1D30032 04CA8340
	v_max3_f32 v50, v66, v67, v50                              // 00000000CC8C: D1D30032 04CA8742
	v_max3_f32 v50, v68, v69, v50                              // 00000000CC94: D1D30032 04CA8B44
	v_max3_f32 v50, v70, v71, v50                              // 00000000CC9C: D1D30032 04CA8F46
	v_max3_f32 v50, v72, v73, v50                              // 00000000CCA4: D1D30032 04CA9348
	v_max3_f32 v50, v74, v75, v50                              // 00000000CCAC: D1D30032 04CA974A
	v_max3_f32 v50, v76, v77, v50                              // 00000000CCB4: D1D30032 04CA9B4C
	v_max3_f32 v50, v78, v79, v50                              // 00000000CCBC: D1D30032 04CA9F4E
	v_cmp_eq_u32_e64 s[40:41], v55, v15                        // 00000000CCC4: D0CA0028 00021F37
	s_nop 1                                                    // 00000000CCCC: BF800001
	v_max_f32_e32 v16, v50, v15                                // 00000000CCD0: 16201F32
	v_sub_f32_e32 v52, v15, v16                                // 00000000CCD4: 0468210F
	v_cndmask_b32_e64 v52, v52, 0, s[40:41]                    // 00000000CCD8: D1000034 00A10134
	v_mov_b32_e32 v15, v16                                     // 00000000CCE0: 7E1E0310
	v_mul_f32_e32 v53, s64, v16                                // 00000000CCE4: 0A6A2040
	v_mul_f32_e32 v52, s64, v52                                // 00000000CCE8: 0A686840
	v_exp_f32_e32 v52, v52                                     // 00000000CCEC: 7E684134
	v_fma_f32 v144, v144, s64, -v53                            // 00000000CCF0: D1CB0090 84D48190
	v_fma_f32 v145, v145, s64, -v53                            // 00000000CCF8: D1CB0091 84D48191
	v_fma_f32 v146, v146, s64, -v53                            // 00000000CD00: D1CB0092 84D48192
	v_fma_f32 v147, v147, s64, -v53                            // 00000000CD08: D1CB0093 84D48193
	v_fma_f32 v148, v148, s64, -v53                            // 00000000CD10: D1CB0094 84D48194
	v_fma_f32 v149, v149, s64, -v53                            // 00000000CD18: D1CB0095 84D48195
	v_fma_f32 v150, v150, s64, -v53                            // 00000000CD20: D1CB0096 84D48196
	v_fma_f32 v151, v151, s64, -v53                            // 00000000CD28: D1CB0097 84D48197
	v_fma_f32 v152, v152, s64, -v53                            // 00000000CD30: D1CB0098 84D48198
	v_fma_f32 v153, v153, s64, -v53                            // 00000000CD38: D1CB0099 84D48199
	v_fma_f32 v154, v154, s64, -v53                            // 00000000CD40: D1CB009A 84D4819A
	v_fma_f32 v155, v155, s64, -v53                            // 00000000CD48: D1CB009B 84D4819B
	v_fma_f32 v156, v156, s64, -v53                            // 00000000CD50: D1CB009C 84D4819C
	v_fma_f32 v157, v157, s64, -v53                            // 00000000CD58: D1CB009D 84D4819D
	v_fma_f32 v158, v158, s64, -v53                            // 00000000CD60: D1CB009E 84D4819E
	v_fma_f32 v159, v159, s64, -v53                            // 00000000CD68: D1CB009F 84D4819F
	v_exp_f32_e32 v144, v144                                   // 00000000CD70: 7F204190
	v_exp_f32_e32 v145, v145                                   // 00000000CD74: 7F224191
	v_exp_f32_e32 v146, v146                                   // 00000000CD78: 7F244192
	v_exp_f32_e32 v147, v147                                   // 00000000CD7C: 7F264193
	v_exp_f32_e32 v148, v148                                   // 00000000CD80: 7F284194
	v_exp_f32_e32 v149, v149                                   // 00000000CD84: 7F2A4195
	v_exp_f32_e32 v150, v150                                   // 00000000CD88: 7F2C4196
	v_exp_f32_e32 v151, v151                                   // 00000000CD8C: 7F2E4197
	v_exp_f32_e32 v152, v152                                   // 00000000CD90: 7F304198
	v_exp_f32_e32 v153, v153                                   // 00000000CD94: 7F324199
	v_exp_f32_e32 v154, v154                                   // 00000000CD98: 7F34419A
	v_exp_f32_e32 v155, v155                                   // 00000000CD9C: 7F36419B
	v_exp_f32_e32 v156, v156                                   // 00000000CDA0: 7F38419C
	v_exp_f32_e32 v157, v157                                   // 00000000CDA4: 7F3A419D
	v_exp_f32_e32 v158, v158                                   // 00000000CDA8: 7F3C419E
	v_exp_f32_e32 v159, v159                                   // 00000000CDAC: 7F3E419F
	v_mul_f32_e32 v44, v52, v44                                // 00000000CDB0: 0A585934
	v_mov_b32_e32 v45, v144                                    // 00000000CDB4: 7E5A0390
	v_add_f32_e32 v45, v145, v45                               // 00000000CDB8: 025A5B91
	v_add_f32_e32 v45, v146, v45                               // 00000000CDBC: 025A5B92
	v_add_f32_e32 v45, v147, v45                               // 00000000CDC0: 025A5B93
	v_add_f32_e32 v45, v148, v45                               // 00000000CDC4: 025A5B94
	v_add_f32_e32 v45, v149, v45                               // 00000000CDC8: 025A5B95
	v_add_f32_e32 v45, v150, v45                               // 00000000CDCC: 025A5B96
	v_add_f32_e32 v45, v151, v45                               // 00000000CDD0: 025A5B97
	v_add_f32_e32 v45, v152, v45                               // 00000000CDD4: 025A5B98
	v_add_f32_e32 v45, v153, v45                               // 00000000CDD8: 025A5B99
	v_add_f32_e32 v45, v154, v45                               // 00000000CDDC: 025A5B9A
	v_add_f32_e32 v45, v155, v45                               // 00000000CDE0: 025A5B9B
	v_add_f32_e32 v45, v156, v45                               // 00000000CDE4: 025A5B9C
	v_add_f32_e32 v45, v157, v45                               // 00000000CDE8: 025A5B9D
	v_add_f32_e32 v45, v158, v45                               // 00000000CDEC: 025A5B9E
	v_add_f32_e32 v45, v159, v45                               // 00000000CDF0: 025A5B9F
	v_add_f32_e32 v44, v45, v44                                // 00000000CDF4: 0258592D
	v_cvt_pkrtz_f16_f32 v39, v144, v145                        // 00000000CDF8: D2960027 00032390
	v_mov_b32_e32 v144, v39                                    // 00000000CE00: 7F200327
	v_cvt_pkrtz_f16_f32 v39, v146, v147                        // 00000000CE04: D2960027 00032792
	v_mov_b32_e32 v145, v39                                    // 00000000CE0C: 7F220327
	v_cvt_pkrtz_f16_f32 v39, v148, v149                        // 00000000CE10: D2960027 00032B94
	v_mov_b32_e32 v146, v39                                    // 00000000CE18: 7F240327
	v_cvt_pkrtz_f16_f32 v39, v150, v151                        // 00000000CE1C: D2960027 00032F96
	v_mov_b32_e32 v147, v39                                    // 00000000CE24: 7F260327
	v_cvt_pkrtz_f16_f32 v39, v152, v153                        // 00000000CE28: D2960027 00033398
	v_mov_b32_e32 v148, v39                                    // 00000000CE30: 7F280327
	v_cvt_pkrtz_f16_f32 v39, v154, v155                        // 00000000CE34: D2960027 0003379A
	v_mov_b32_e32 v149, v39                                    // 00000000CE3C: 7F2A0327
	v_cvt_pkrtz_f16_f32 v39, v156, v157                        // 00000000CE40: D2960027 00033B9C
	v_mov_b32_e32 v150, v39                                    // 00000000CE48: 7F2C0327
	v_cvt_pkrtz_f16_f32 v39, v158, v159                        // 00000000CE4C: D2960027 00033F9E
	v_mov_b32_e32 v151, v39                                    // 00000000CE54: 7F2E0327
	ds_write_b64 v13, v[144:145] offset:4096                   // 00000000CE58: D89A1000 0000900D
	ds_write_b64 v13, v[146:147] offset:6144                   // 00000000CE60: D89A1800 0000920D
	ds_write_b64 v13, v[148:149] offset:8192                   // 00000000CE68: D89A2000 0000940D
	ds_write_b64 v13, v[150:151] offset:10240                  // 00000000CE70: D89A2800 0000960D
	s_waitcnt lgkmcnt(0)                                       // 00000000CE78: BF8CC07F
	s_barrier                                                  // 00000000CE7C: BF8A0000
	ds_read_b64 v[144:145], v12 offset:4096                    // 00000000CE80: D8EC1000 9000000C
	ds_read_b64 v[146:147], v12 offset:4224                    // 00000000CE88: D8EC1080 9200000C
	ds_read_b64 v[148:149], v12 offset:5120                    // 00000000CE90: D8EC1400 9400000C
	ds_read_b64 v[150:151], v12 offset:5248                    // 00000000CE98: D8EC1480 9600000C
	ds_read_b64 v[152:153], v12 offset:6144                    // 00000000CEA0: D8EC1800 9800000C
	ds_read_b64 v[154:155], v12 offset:6272                    // 00000000CEA8: D8EC1880 9A00000C
	ds_read_b64 v[156:157], v12 offset:7168                    // 00000000CEB0: D8EC1C00 9C00000C
	ds_read_b64 v[158:159], v12 offset:7296                    // 00000000CEB8: D8EC1C80 9E00000C
	ds_read_b64 v[160:161], v12 offset:8192                    // 00000000CEC0: D8EC2000 A000000C
	ds_read_b64 v[162:163], v12 offset:8320                    // 00000000CEC8: D8EC2080 A200000C
	ds_read_b64 v[164:165], v12 offset:9216                    // 00000000CED0: D8EC2400 A400000C
	ds_read_b64 v[166:167], v12 offset:9344                    // 00000000CED8: D8EC2480 A600000C
	ds_read_b64 v[168:169], v12 offset:10240                   // 00000000CEE0: D8EC2800 A800000C
	ds_read_b64 v[170:171], v12 offset:10368                   // 00000000CEE8: D8EC2880 AA00000C
	ds_read_b64 v[172:173], v12 offset:11264                   // 00000000CEF0: D8EC2C00 AC00000C
	ds_read_b64 v[174:175], v12 offset:11392                   // 00000000CEF8: D8EC2C80 AE00000C
	s_waitcnt lgkmcnt(0)                                       // 00000000CF00: BF8CC07F
	v_mul_f32_e32 v176, v51, v176                              // 00000000CF04: 0B616133
	v_mul_f32_e32 v177, v51, v177                              // 00000000CF08: 0B636333
	v_mul_f32_e32 v178, v51, v178                              // 00000000CF0C: 0B656533
	v_mul_f32_e32 v179, v51, v179                              // 00000000CF10: 0B676733
	v_mul_f32_e32 v180, v51, v180                              // 00000000CF14: 0B696933
	v_mul_f32_e32 v181, v51, v181                              // 00000000CF18: 0B6B6B33
	v_mul_f32_e32 v182, v51, v182                              // 00000000CF1C: 0B6D6D33
	v_mul_f32_e32 v183, v51, v183                              // 00000000CF20: 0B6F6F33
	v_mul_f32_e32 v184, v52, v184                              // 00000000CF24: 0B717134
	v_mul_f32_e32 v185, v52, v185                              // 00000000CF28: 0B737334
	v_mul_f32_e32 v186, v52, v186                              // 00000000CF2C: 0B757534
	v_mul_f32_e32 v187, v52, v187                              // 00000000CF30: 0B777734
	v_mul_f32_e32 v188, v52, v188                              // 00000000CF34: 0B797934
	v_mul_f32_e32 v189, v52, v189                              // 00000000CF38: 0B7B7B34
	v_mul_f32_e32 v190, v52, v190                              // 00000000CF3C: 0B7D7D34
	v_mul_f32_e32 v191, v52, v191                              // 00000000CF40: 0B7F7F34
	s_waitcnt vmcnt(24)                                        // 00000000CF44: BF8C4F78
	v_mfma_f32_16x16x16_f16 v[176:179], a[128:129], v[112:113], v[176:179]// 00000000CF48: D3CD00B0 0EC2E180
	buffer_load_dwordx4 a[224:227], v200, s[20:23], 0 offen offset:1024// 00000000CF50: E05C1400 8085E0C8
	v_mfma_f32_16x16x16_f16 v[176:179], a[130:131], v[114:115], v[176:179]// 00000000CF58: D3CD00B0 0EC2E582
	v_mfma_f32_16x16x16_f16 v[176:179], a[132:133], v[116:117], v[176:179]// 00000000CF60: D3CD00B0 0EC2E984
	v_mfma_f32_16x16x16_f16 v[176:179], a[134:135], v[118:119], v[176:179]// 00000000CF68: D3CD00B0 0EC2ED86
	v_mfma_f32_16x16x16_f16 v[176:179], a[136:137], v[120:121], v[176:179]// 00000000CF70: D3CD00B0 0EC2F188
	buffer_load_dwordx4 a[228:231], v201, s[20:23], 0 offen offset:1024// 00000000CF78: E05C1400 8085E4C9
	v_mfma_f32_16x16x16_f16 v[176:179], a[138:139], v[122:123], v[176:179]// 00000000CF80: D3CD00B0 0EC2F58A
	v_mfma_f32_16x16x16_f16 v[176:179], a[140:141], v[124:125], v[176:179]// 00000000CF88: D3CD00B0 0EC2F98C
	v_mfma_f32_16x16x16_f16 v[176:179], a[142:143], v[126:127], v[176:179]// 00000000CF90: D3CD00B0 0EC2FD8E
	v_mfma_f32_16x16x16_f16 v[176:179], a[144:145], v[128:129], v[176:179]// 00000000CF98: D3CD00B0 0EC30190
	buffer_load_dwordx4 a[232:235], v202, s[20:23], 0 offen offset:1024// 00000000CFA0: E05C1400 8085E8CA
	v_mfma_f32_16x16x16_f16 v[176:179], a[146:147], v[130:131], v[176:179]// 00000000CFA8: D3CD00B0 0EC30592
	v_mfma_f32_16x16x16_f16 v[176:179], a[148:149], v[132:133], v[176:179]// 00000000CFB0: D3CD00B0 0EC30994
	v_mfma_f32_16x16x16_f16 v[176:179], a[150:151], v[134:135], v[176:179]// 00000000CFB8: D3CD00B0 0EC30D96
	v_mfma_f32_16x16x16_f16 v[176:179], a[152:153], v[136:137], v[176:179]// 00000000CFC0: D3CD00B0 0EC31198
	buffer_load_dwordx4 a[236:239], v203, s[20:23], 0 offen offset:1024// 00000000CFC8: E05C1400 8085ECCB
	v_mfma_f32_16x16x16_f16 v[176:179], a[154:155], v[138:139], v[176:179]// 00000000CFD0: D3CD00B0 0EC3159A
	v_mfma_f32_16x16x16_f16 v[176:179], a[156:157], v[140:141], v[176:179]// 00000000CFD8: D3CD00B0 0EC3199C
	v_mfma_f32_16x16x16_f16 v[176:179], a[158:159], v[142:143], v[176:179]// 00000000CFE0: D3CD00B0 0EC31D9E
	v_mfma_f32_16x16x16_f16 v[180:183], a[160:161], v[112:113], v[180:183]// 00000000CFE8: D3CD00B4 0ED2E1A0
	buffer_load_dwordx4 a[240:243], v204, s[20:23], 0 offen offset:1024// 00000000CFF0: E05C1400 8085F0CC
	v_mfma_f32_16x16x16_f16 v[180:183], a[162:163], v[114:115], v[180:183]// 00000000CFF8: D3CD00B4 0ED2E5A2
	v_mfma_f32_16x16x16_f16 v[180:183], a[164:165], v[116:117], v[180:183]// 00000000D000: D3CD00B4 0ED2E9A4
	v_mfma_f32_16x16x16_f16 v[180:183], a[166:167], v[118:119], v[180:183]// 00000000D008: D3CD00B4 0ED2EDA6
	v_mfma_f32_16x16x16_f16 v[180:183], a[168:169], v[120:121], v[180:183]// 00000000D010: D3CD00B4 0ED2F1A8
	buffer_load_dwordx4 a[244:247], v205, s[20:23], 0 offen offset:1024// 00000000D018: E05C1400 8085F4CD
	v_mfma_f32_16x16x16_f16 v[180:183], a[170:171], v[122:123], v[180:183]// 00000000D020: D3CD00B4 0ED2F5AA
	v_mfma_f32_16x16x16_f16 v[180:183], a[172:173], v[124:125], v[180:183]// 00000000D028: D3CD00B4 0ED2F9AC
	v_mfma_f32_16x16x16_f16 v[180:183], a[174:175], v[126:127], v[180:183]// 00000000D030: D3CD00B4 0ED2FDAE
	v_mfma_f32_16x16x16_f16 v[180:183], a[176:177], v[128:129], v[180:183]// 00000000D038: D3CD00B4 0ED301B0
	buffer_load_dwordx4 a[248:251], v206, s[20:23], 0 offen offset:1024// 00000000D040: E05C1400 8085F8CE
	v_mfma_f32_16x16x16_f16 v[180:183], a[178:179], v[130:131], v[180:183]// 00000000D048: D3CD00B4 0ED305B2
	v_mfma_f32_16x16x16_f16 v[180:183], a[180:181], v[132:133], v[180:183]// 00000000D050: D3CD00B4 0ED309B4
	v_mfma_f32_16x16x16_f16 v[180:183], a[182:183], v[134:135], v[180:183]// 00000000D058: D3CD00B4 0ED30DB6
	v_mfma_f32_16x16x16_f16 v[180:183], a[184:185], v[136:137], v[180:183]// 00000000D060: D3CD00B4 0ED311B8
	buffer_load_dwordx4 a[252:255], v207, s[20:23], 0 offen offset:1024// 00000000D068: E05C1400 8085FCCF
	v_mfma_f32_16x16x16_f16 v[180:183], a[186:187], v[138:139], v[180:183]// 00000000D070: D3CD00B4 0ED315BA
	v_mfma_f32_16x16x16_f16 v[180:183], a[188:189], v[140:141], v[180:183]// 00000000D078: D3CD00B4 0ED319BC
	v_mfma_f32_16x16x16_f16 v[180:183], a[190:191], v[142:143], v[180:183]// 00000000D080: D3CD00B4 0ED31DBE
	v_mfma_f32_16x16x16_f16 v[184:187], a[128:129], v[144:145], v[184:187]// 00000000D088: D3CD00B8 0EE32180
	v_mfma_f32_16x16x16_f16 v[184:187], a[130:131], v[146:147], v[184:187]// 00000000D090: D3CD00B8 0EE32582
	v_mfma_f32_16x16x16_f16 v[184:187], a[132:133], v[148:149], v[184:187]// 00000000D098: D3CD00B8 0EE32984
	v_mfma_f32_16x16x16_f16 v[184:187], a[134:135], v[150:151], v[184:187]// 00000000D0A0: D3CD00B8 0EE32D86
	v_mfma_f32_16x16x16_f16 v[184:187], a[136:137], v[152:153], v[184:187]// 00000000D0A8: D3CD00B8 0EE33188
	v_mfma_f32_16x16x16_f16 v[184:187], a[138:139], v[154:155], v[184:187]// 00000000D0B0: D3CD00B8 0EE3358A
	v_mfma_f32_16x16x16_f16 v[184:187], a[140:141], v[156:157], v[184:187]// 00000000D0B8: D3CD00B8 0EE3398C
	v_mfma_f32_16x16x16_f16 v[184:187], a[142:143], v[158:159], v[184:187]// 00000000D0C0: D3CD00B8 0EE33D8E
	v_mfma_f32_16x16x16_f16 v[184:187], a[144:145], v[160:161], v[184:187]// 00000000D0C8: D3CD00B8 0EE34190
	v_mfma_f32_16x16x16_f16 v[184:187], a[146:147], v[162:163], v[184:187]// 00000000D0D0: D3CD00B8 0EE34592
	v_mfma_f32_16x16x16_f16 v[184:187], a[148:149], v[164:165], v[184:187]// 00000000D0D8: D3CD00B8 0EE34994
	v_mfma_f32_16x16x16_f16 v[184:187], a[150:151], v[166:167], v[184:187]// 00000000D0E0: D3CD00B8 0EE34D96
	v_mfma_f32_16x16x16_f16 v[184:187], a[152:153], v[168:169], v[184:187]// 00000000D0E8: D3CD00B8 0EE35198
	v_mfma_f32_16x16x16_f16 v[184:187], a[154:155], v[170:171], v[184:187]// 00000000D0F0: D3CD00B8 0EE3559A
	v_mfma_f32_16x16x16_f16 v[184:187], a[156:157], v[172:173], v[184:187]// 00000000D0F8: D3CD00B8 0EE3599C
	v_mfma_f32_16x16x16_f16 v[184:187], a[158:159], v[174:175], v[184:187]// 00000000D100: D3CD00B8 0EE35D9E
	v_mfma_f32_16x16x16_f16 v[188:191], a[160:161], v[144:145], v[188:191]// 00000000D108: D3CD00BC 0EF321A0
	v_mfma_f32_16x16x16_f16 v[188:191], a[162:163], v[146:147], v[188:191]// 00000000D110: D3CD00BC 0EF325A2
	v_mfma_f32_16x16x16_f16 v[188:191], a[164:165], v[148:149], v[188:191]// 00000000D118: D3CD00BC 0EF329A4
	v_mfma_f32_16x16x16_f16 v[188:191], a[166:167], v[150:151], v[188:191]// 00000000D120: D3CD00BC 0EF32DA6
	v_mfma_f32_16x16x16_f16 v[188:191], a[168:169], v[152:153], v[188:191]// 00000000D128: D3CD00BC 0EF331A8
	v_mfma_f32_16x16x16_f16 v[188:191], a[170:171], v[154:155], v[188:191]// 00000000D130: D3CD00BC 0EF335AA
	v_mfma_f32_16x16x16_f16 v[188:191], a[172:173], v[156:157], v[188:191]// 00000000D138: D3CD00BC 0EF339AC
	v_mfma_f32_16x16x16_f16 v[188:191], a[174:175], v[158:159], v[188:191]// 00000000D140: D3CD00BC 0EF33DAE
	v_mfma_f32_16x16x16_f16 v[188:191], a[176:177], v[160:161], v[188:191]// 00000000D148: D3CD00BC 0EF341B0
	v_mfma_f32_16x16x16_f16 v[188:191], a[178:179], v[162:163], v[188:191]// 00000000D150: D3CD00BC 0EF345B2
	v_mfma_f32_16x16x16_f16 v[188:191], a[180:181], v[164:165], v[188:191]// 00000000D158: D3CD00BC 0EF349B4
	v_mfma_f32_16x16x16_f16 v[188:191], a[182:183], v[166:167], v[188:191]// 00000000D160: D3CD00BC 0EF34DB6
	v_mfma_f32_16x16x16_f16 v[188:191], a[184:185], v[168:169], v[188:191]// 00000000D168: D3CD00BC 0EF351B8
	v_mfma_f32_16x16x16_f16 v[188:191], a[186:187], v[170:171], v[188:191]// 00000000D170: D3CD00BC 0EF355BA
	v_mfma_f32_16x16x16_f16 v[188:191], a[188:189], v[172:173], v[188:191]// 00000000D178: D3CD00BC 0EF359BC
	v_mfma_f32_16x16x16_f16 v[188:191], a[190:191], v[174:175], v[188:191]// 00000000D180: D3CD00BC 0EF35DBE
	s_lshr_b32 s60, s70, 4                                     // 00000000D188: 8F3C8446
	s_add_u32 s60, 48, s60                                     // 00000000D18C: 803C3CB0
	s_cmp_ge_u32 s60, s73                                      // 00000000D190: BF09493C
	s_cselect_b32 s56, 0, s56                                  // 00000000D194: 85383880
	v_mul_u32_u24_dpp v39, v17, v54 row_newbcast:0 row_mask:0xf bank_mask:0xf// 00000000D198: 104E6CFA FF015011
	v_mul_u32_u24_dpp v40, v17, v54 row_newbcast:4 row_mask:0xf bank_mask:0xf// 00000000D1A0: 10506CFA FF015411
	v_mul_u32_u24_dpp v41, v17, v54 row_newbcast:8 row_mask:0xf bank_mask:0xf// 00000000D1A8: 10526CFA FF015811
	v_mul_u32_u24_dpp v42, v17, v54 row_newbcast:12 row_mask:0xf bank_mask:0xf// 00000000D1B0: 10546CFA FF015C11
	v_add_u32_e32 v23, v39, v6                                 // 00000000D1B8: 682E0D27
	v_add_u32_e32 v24, v40, v6                                 // 00000000D1BC: 68300D28
	v_add_u32_e32 v25, v41, v6                                 // 00000000D1C0: 68320D29
	v_add_u32_e32 v26, v42, v6                                 // 00000000D1C4: 68340D2A
	v_mul_u32_u24_dpp v39, v17, v54 row_newbcast:1 row_mask:0xf bank_mask:0xf// 00000000D1C8: 104E6CFA FF015111
	v_mul_u32_u24_dpp v40, v17, v54 row_newbcast:2 row_mask:0xf bank_mask:0xf// 00000000D1D0: 10506CFA FF015211
	v_mul_u32_u24_dpp v41, v17, v54 row_newbcast:5 row_mask:0xf bank_mask:0xf// 00000000D1D8: 10526CFA FF015511
	v_mul_u32_u24_dpp v42, v17, v54 row_newbcast:6 row_mask:0xf bank_mask:0xf// 00000000D1E0: 10546CFA FF015611
	v_add_u32_e32 v192, v39, v7                                // 00000000D1E8: 69800F27
	v_add_u32_e32 v193, v40, v7                                // 00000000D1EC: 69820F28
	v_add_u32_e32 v194, v41, v7                                // 00000000D1F0: 69840F29
	v_add_u32_e32 v195, v42, v7                                // 00000000D1F4: 69860F2A
	v_mul_u32_u24_dpp v39, v17, v54 row_newbcast:9 row_mask:0xf bank_mask:0xf// 00000000D1F8: 104E6CFA FF015911
	v_mul_u32_u24_dpp v40, v17, v54 row_newbcast:10 row_mask:0xf bank_mask:0xf// 00000000D200: 10506CFA FF015A11
	v_mul_u32_u24_dpp v41, v17, v54 row_newbcast:13 row_mask:0xf bank_mask:0xf// 00000000D208: 10526CFA FF015D11
	v_mul_u32_u24_dpp v42, v17, v54 row_newbcast:7 row_mask:0xf bank_mask:0xf// 00000000D210: 10546CFA FF015711
	v_add_u32_e32 v196, v39, v7                                // 00000000D218: 69880F27
	v_add_u32_e32 v197, v40, v7                                // 00000000D21C: 698A0F28
	v_add_u32_e32 v198, v41, v7                                // 00000000D220: 698C0F29
	v_add_u32_e32 v199, v42, v7                                // 00000000D224: 698E0F2A
	v_add_u32_e32 v1, s56, v1                                  // 00000000D228: 68020238
	s_addk_i32 s70, 0x100                                      // 00000000D22C: B7460100
	s_cmp_lt_i32 s70, s71                                      // 00000000D230: BF044746
	s_cbranch_scc0 label_27F1                                  // 00000000D234: BF84FBE2
	s_waitcnt vmcnt(16) lgkmcnt(0)                             // 00000000D238: BF8C4070
	v_mfma_f32_16x16x16_f16 v[112:115], a[64:65], v[80:81], 0  // 00000000D23C: D3CD0070 0A02A140
	buffer_load_dwordx4 a[0:3], v23, s[16:19], 0 offen         // 00000000D244: E05C1000 80840017
	v_mfma_f32_16x16x16_f16 v[112:115], a[66:67], v[82:83], v[112:115]// 00000000D24C: D3CD0070 0DC2A542
	v_mfma_f32_16x16x16_f16 v[112:115], a[68:69], v[84:85], v[112:115]// 00000000D254: D3CD0070 0DC2A944
	buffer_load_dword v18, v1, s[24:27], 0 offen               // 00000000D25C: E0501000 80061201
	v_mfma_f32_16x16x16_f16 v[112:115], a[70:71], v[86:87], v[112:115]// 00000000D264: D3CD0070 0DC2AD46
	v_mfma_f32_16x16x16_f16 v[112:115], a[72:73], v[88:89], v[112:115]// 00000000D26C: D3CD0070 0DC2B148
	buffer_load_dwordx4 a[4:7], v23, s[16:19], 0 offen offset:1024// 00000000D274: E05C1400 80840417
	v_mfma_f32_16x16x16_f16 v[112:115], a[74:75], v[90:91], v[112:115]// 00000000D27C: D3CD0070 0DC2B54A
	v_mfma_f32_16x16x16_f16 v[112:115], a[76:77], v[92:93], v[112:115]// 00000000D284: D3CD0070 0DC2B94C
	v_mfma_f32_16x16x16_f16 v[112:115], a[78:79], v[94:95], v[112:115]// 00000000D28C: D3CD0070 0DC2BD4E
	v_mfma_f32_16x16x16_f16 v[116:119], a[80:81], v[80:81], 0  // 00000000D294: D3CD0074 0A02A150
	buffer_load_dwordx4 a[8:11], v23, s[16:19], 0 offen offset:2048// 00000000D29C: E05C1800 80840817
	v_mfma_f32_16x16x16_f16 v[116:119], a[82:83], v[82:83], v[116:119]// 00000000D2A4: D3CD0074 0DD2A552
	v_mfma_f32_16x16x16_f16 v[116:119], a[84:85], v[84:85], v[116:119]// 00000000D2AC: D3CD0074 0DD2A954
	v_mfma_f32_16x16x16_f16 v[116:119], a[86:87], v[86:87], v[116:119]// 00000000D2B4: D3CD0074 0DD2AD56
	v_mfma_f32_16x16x16_f16 v[116:119], a[88:89], v[88:89], v[116:119]// 00000000D2BC: D3CD0074 0DD2B158
	buffer_load_dwordx4 a[12:15], v23, s[16:19], 0 offen offset:3072// 00000000D2C4: E05C1C00 80840C17
	v_mfma_f32_16x16x16_f16 v[116:119], a[90:91], v[90:91], v[116:119]// 00000000D2CC: D3CD0074 0DD2B55A
	v_mfma_f32_16x16x16_f16 v[116:119], a[92:93], v[92:93], v[116:119]// 00000000D2D4: D3CD0074 0DD2B95C
	v_mfma_f32_16x16x16_f16 v[116:119], a[94:95], v[94:95], v[116:119]// 00000000D2DC: D3CD0074 0DD2BD5E
	v_mfma_f32_16x16x16_f16 v[120:123], a[96:97], v[80:81], 0  // 00000000D2E4: D3CD0078 0A02A160
	buffer_load_dwordx4 a[16:19], v24, s[16:19], 0 offen       // 00000000D2EC: E05C1000 80841018
	v_mfma_f32_16x16x16_f16 v[120:123], a[98:99], v[82:83], v[120:123]// 00000000D2F4: D3CD0078 0DE2A562
	v_mfma_f32_16x16x16_f16 v[120:123], a[100:101], v[84:85], v[120:123]// 00000000D2FC: D3CD0078 0DE2A964
	v_mfma_f32_16x16x16_f16 v[120:123], a[102:103], v[86:87], v[120:123]// 00000000D304: D3CD0078 0DE2AD66
	v_mfma_f32_16x16x16_f16 v[120:123], a[104:105], v[88:89], v[120:123]// 00000000D30C: D3CD0078 0DE2B168
	buffer_load_dwordx4 a[20:23], v24, s[16:19], 0 offen offset:1024// 00000000D314: E05C1400 80841418
	v_mfma_f32_16x16x16_f16 v[120:123], a[106:107], v[90:91], v[120:123]// 00000000D31C: D3CD0078 0DE2B56A
	v_mfma_f32_16x16x16_f16 v[120:123], a[108:109], v[92:93], v[120:123]// 00000000D324: D3CD0078 0DE2B96C
	v_mfma_f32_16x16x16_f16 v[120:123], a[110:111], v[94:95], v[120:123]// 00000000D32C: D3CD0078 0DE2BD6E
	v_mfma_f32_16x16x16_f16 v[124:127], a[112:113], v[80:81], 0// 00000000D334: D3CD007C 0A02A170
	buffer_load_dwordx4 a[24:27], v24, s[16:19], 0 offen offset:2048// 00000000D33C: E05C1800 80841818
	v_mfma_f32_16x16x16_f16 v[124:127], a[114:115], v[82:83], v[124:127]// 00000000D344: D3CD007C 0DF2A572
	v_mfma_f32_16x16x16_f16 v[124:127], a[116:117], v[84:85], v[124:127]// 00000000D34C: D3CD007C 0DF2A974
	v_mfma_f32_16x16x16_f16 v[124:127], a[118:119], v[86:87], v[124:127]// 00000000D354: D3CD007C 0DF2AD76
	v_mfma_f32_16x16x16_f16 v[124:127], a[120:121], v[88:89], v[124:127]// 00000000D35C: D3CD007C 0DF2B178
	buffer_load_dwordx4 a[28:31], v24, s[16:19], 0 offen offset:3072// 00000000D364: E05C1C00 80841C18
	v_mfma_f32_16x16x16_f16 v[124:127], a[122:123], v[90:91], v[124:127]// 00000000D36C: D3CD007C 0DF2B57A
	v_mfma_f32_16x16x16_f16 v[124:127], a[124:125], v[92:93], v[124:127]// 00000000D374: D3CD007C 0DF2B97C
	v_mfma_f32_16x16x16_f16 v[124:127], a[126:127], v[94:95], v[124:127]// 00000000D37C: D3CD007C 0DF2BD7E
	s_cmp_le_i32 s90, s89                                      // 00000000D384: BF05595A
	s_cbranch_scc1 label_2CD7                                  // 00000000D388: BF850073
	v_mov_b32_e32 v55, 0xff800000                              // 00000000D38C: 7E6E02FF FF800000
	s_mov_b32 s60, s90                                         // 00000000D394: BEBC005A
	s_add_u32 s61, s89, 0xff                                   // 00000000D398: 803DFF59 000000FF
	v_mov_b32_e32 v39, s61                                     // 00000000D3A0: 7E4E023D
	v_lshrrev_b32_e32 v31, 4, v0                               // 00000000D3A4: 203E0084
	v_mul_i32_i24_e32 v31, 4, v31                              // 00000000D3A8: 0C3E3E84
	v_add_u32_e32 v31, s60, v31                                // 00000000D3AC: 683E3E3C
	v_and_b32_e32 v40, 15, v0                                  // 00000000D3B0: 2650008F
	v_lshrrev_b32_e32 v40, 3, v40                              // 00000000D3B4: 20505083
	s_mov_b32 s61, 0                                           // 00000000D3B8: BEBD0080
	s_mul_i32 s60, 16, s7                                      // 00000000D3BC: 923C0790
	v_add_u32_e32 v40, s61, v40                                // 00000000D3C0: 6850503D
	v_sub_u32_e32 v31, v31, v40                                // 00000000D3C4: 6A3E511F
	v_add_u32_e32 v31, s60, v31                                // 00000000D3C8: 683E3E3C
	v_add_u32_e32 v32, 1, v31                                  // 00000000D3CC: 68403E81
	v_add_u32_e32 v33, 2, v31                                  // 00000000D3D0: 68423E82
	v_add_u32_e32 v34, 3, v31                                  // 00000000D3D4: 68443E83
	v_cmp_le_u32_e64 s[40:41], v31, v39                        // 00000000D3D8: D0CB0028 00024F1F
	v_add_u32_e32 v31, 64, v31                                 // 00000000D3E0: 683E3EC0
	s_nop 0                                                    // 00000000D3E4: BF800000
	v_cndmask_b32_e64 v112, v55, v112, s[40:41]                // 00000000D3E8: D1000070 00A2E137
	v_cmp_le_u32_e64 s[40:41], v32, v39                        // 00000000D3F0: D0CB0028 00024F20
	v_add_u32_e32 v32, 64, v32                                 // 00000000D3F8: 684040C0
	s_nop 0                                                    // 00000000D3FC: BF800000
	v_cndmask_b32_e64 v113, v55, v113, s[40:41]                // 00000000D400: D1000071 00A2E337
	v_cmp_le_u32_e64 s[40:41], v33, v39                        // 00000000D408: D0CB0028 00024F21
	v_add_u32_e32 v33, 64, v33                                 // 00000000D410: 684242C0
	s_nop 0                                                    // 00000000D414: BF800000
	v_cndmask_b32_e64 v114, v55, v114, s[40:41]                // 00000000D418: D1000072 00A2E537
	v_cmp_le_u32_e64 s[40:41], v34, v39                        // 00000000D420: D0CB0028 00024F22
	v_add_u32_e32 v34, 64, v34                                 // 00000000D428: 684444C0
	s_nop 0                                                    // 00000000D42C: BF800000
	v_cndmask_b32_e64 v115, v55, v115, s[40:41]                // 00000000D430: D1000073 00A2E737
	v_cmp_le_u32_e64 s[40:41], v31, v39                        // 00000000D438: D0CB0028 00024F1F
	v_add_u32_e32 v31, 64, v31                                 // 00000000D440: 683E3EC0
	s_nop 0                                                    // 00000000D444: BF800000
	v_cndmask_b32_e64 v116, v55, v116, s[40:41]                // 00000000D448: D1000074 00A2E937
	v_cmp_le_u32_e64 s[40:41], v32, v39                        // 00000000D450: D0CB0028 00024F20
	v_add_u32_e32 v32, 64, v32                                 // 00000000D458: 684040C0
	s_nop 0                                                    // 00000000D45C: BF800000
	v_cndmask_b32_e64 v117, v55, v117, s[40:41]                // 00000000D460: D1000075 00A2EB37
	v_cmp_le_u32_e64 s[40:41], v33, v39                        // 00000000D468: D0CB0028 00024F21
	v_add_u32_e32 v33, 64, v33                                 // 00000000D470: 684242C0
	s_nop 0                                                    // 00000000D474: BF800000
	v_cndmask_b32_e64 v118, v55, v118, s[40:41]                // 00000000D478: D1000076 00A2ED37
	v_cmp_le_u32_e64 s[40:41], v34, v39                        // 00000000D480: D0CB0028 00024F22
	v_add_u32_e32 v34, 64, v34                                 // 00000000D488: 684444C0
	s_nop 0                                                    // 00000000D48C: BF800000
	v_cndmask_b32_e64 v119, v55, v119, s[40:41]                // 00000000D490: D1000077 00A2EF37
	v_cmp_le_u32_e64 s[40:41], v31, v39                        // 00000000D498: D0CB0028 00024F1F
	v_add_u32_e32 v31, 64, v31                                 // 00000000D4A0: 683E3EC0
	s_nop 0                                                    // 00000000D4A4: BF800000
	v_cndmask_b32_e64 v120, v55, v120, s[40:41]                // 00000000D4A8: D1000078 00A2F137
	v_cmp_le_u32_e64 s[40:41], v32, v39                        // 00000000D4B0: D0CB0028 00024F20
	v_add_u32_e32 v32, 64, v32                                 // 00000000D4B8: 684040C0
	s_nop 0                                                    // 00000000D4BC: BF800000
	v_cndmask_b32_e64 v121, v55, v121, s[40:41]                // 00000000D4C0: D1000079 00A2F337
	v_cmp_le_u32_e64 s[40:41], v33, v39                        // 00000000D4C8: D0CB0028 00024F21
	v_add_u32_e32 v33, 64, v33                                 // 00000000D4D0: 684242C0
	s_nop 0                                                    // 00000000D4D4: BF800000
	v_cndmask_b32_e64 v122, v55, v122, s[40:41]                // 00000000D4D8: D100007A 00A2F537
	v_cmp_le_u32_e64 s[40:41], v34, v39                        // 00000000D4E0: D0CB0028 00024F22
	v_add_u32_e32 v34, 64, v34                                 // 00000000D4E8: 684444C0
	s_nop 0                                                    // 00000000D4EC: BF800000
	v_cndmask_b32_e64 v123, v55, v123, s[40:41]                // 00000000D4F0: D100007B 00A2F737
	v_cmp_le_u32_e64 s[40:41], v31, v39                        // 00000000D4F8: D0CB0028 00024F1F
	v_add_u32_e32 v31, 64, v31                                 // 00000000D500: 683E3EC0
	s_nop 0                                                    // 00000000D504: BF800000
	v_cndmask_b32_e64 v124, v55, v124, s[40:41]                // 00000000D508: D100007C 00A2F937
	v_cmp_le_u32_e64 s[40:41], v32, v39                        // 00000000D510: D0CB0028 00024F20
	v_add_u32_e32 v32, 64, v32                                 // 00000000D518: 684040C0
	s_nop 0                                                    // 00000000D51C: BF800000
	v_cndmask_b32_e64 v125, v55, v125, s[40:41]                // 00000000D520: D100007D 00A2FB37
	v_cmp_le_u32_e64 s[40:41], v33, v39                        // 00000000D528: D0CB0028 00024F21
	v_add_u32_e32 v33, 64, v33                                 // 00000000D530: 684242C0
	s_nop 0                                                    // 00000000D534: BF800000
	v_cndmask_b32_e64 v126, v55, v126, s[40:41]                // 00000000D538: D100007E 00A2FD37
	v_cmp_le_u32_e64 s[40:41], v34, v39                        // 00000000D540: D0CB0028 00024F22
	v_add_u32_e32 v34, 64, v34                                 // 00000000D548: 684444C0
	s_nop 0                                                    // 00000000D54C: BF800000
	v_cndmask_b32_e64 v127, v55, v127, s[40:41]                // 00000000D550: D100007F 00A2FF37

000000000000d558 <label_2CD7>:
	s_waitcnt vmcnt(16) lgkmcnt(0)                             // 00000000D558: BF8C4070
	v_mfma_f32_16x16x16_f16 v[144:147], a[64:65], v[96:97], 0  // 00000000D55C: D3CD0090 0A02C140
	v_mfma_f32_16x16x16_f16 v[144:147], a[66:67], v[98:99], v[144:147]// 00000000D564: D3CD0090 0E42C542
	v_mfma_f32_16x16x16_f16 v[144:147], a[68:69], v[100:101], v[144:147]// 00000000D56C: D3CD0090 0E42C944
	v_mfma_f32_16x16x16_f16 v[144:147], a[70:71], v[102:103], v[144:147]// 00000000D574: D3CD0090 0E42CD46
	v_mfma_f32_16x16x16_f16 v[144:147], a[72:73], v[104:105], v[144:147]// 00000000D57C: D3CD0090 0E42D148
	v_mfma_f32_16x16x16_f16 v[144:147], a[74:75], v[106:107], v[144:147]// 00000000D584: D3CD0090 0E42D54A
	v_mfma_f32_16x16x16_f16 v[144:147], a[76:77], v[108:109], v[144:147]// 00000000D58C: D3CD0090 0E42D94C
	v_mfma_f32_16x16x16_f16 v[144:147], a[78:79], v[110:111], v[144:147]// 00000000D594: D3CD0090 0E42DD4E
	v_mfma_f32_16x16x16_f16 v[148:151], a[80:81], v[96:97], 0  // 00000000D59C: D3CD0094 0A02C150
	v_mfma_f32_16x16x16_f16 v[148:151], a[82:83], v[98:99], v[148:151]// 00000000D5A4: D3CD0094 0E52C552
	v_mfma_f32_16x16x16_f16 v[148:151], a[84:85], v[100:101], v[148:151]// 00000000D5AC: D3CD0094 0E52C954
	v_mfma_f32_16x16x16_f16 v[148:151], a[86:87], v[102:103], v[148:151]// 00000000D5B4: D3CD0094 0E52CD56
	v_mfma_f32_16x16x16_f16 v[148:151], a[88:89], v[104:105], v[148:151]// 00000000D5BC: D3CD0094 0E52D158
	v_mfma_f32_16x16x16_f16 v[148:151], a[90:91], v[106:107], v[148:151]// 00000000D5C4: D3CD0094 0E52D55A
	v_mfma_f32_16x16x16_f16 v[148:151], a[92:93], v[108:109], v[148:151]// 00000000D5CC: D3CD0094 0E52D95C
	v_mfma_f32_16x16x16_f16 v[148:151], a[94:95], v[110:111], v[148:151]// 00000000D5D4: D3CD0094 0E52DD5E
	v_mfma_f32_16x16x16_f16 v[152:155], a[96:97], v[96:97], 0  // 00000000D5DC: D3CD0098 0A02C160
	v_mfma_f32_16x16x16_f16 v[152:155], a[98:99], v[98:99], v[152:155]// 00000000D5E4: D3CD0098 0E62C562
	v_mfma_f32_16x16x16_f16 v[152:155], a[100:101], v[100:101], v[152:155]// 00000000D5EC: D3CD0098 0E62C964
	v_mfma_f32_16x16x16_f16 v[152:155], a[102:103], v[102:103], v[152:155]// 00000000D5F4: D3CD0098 0E62CD66
	v_mfma_f32_16x16x16_f16 v[152:155], a[104:105], v[104:105], v[152:155]// 00000000D5FC: D3CD0098 0E62D168
	v_mfma_f32_16x16x16_f16 v[152:155], a[106:107], v[106:107], v[152:155]// 00000000D604: D3CD0098 0E62D56A
	v_mfma_f32_16x16x16_f16 v[152:155], a[108:109], v[108:109], v[152:155]// 00000000D60C: D3CD0098 0E62D96C
	v_mfma_f32_16x16x16_f16 v[152:155], a[110:111], v[110:111], v[152:155]// 00000000D614: D3CD0098 0E62DD6E
	v_mfma_f32_16x16x16_f16 v[156:159], a[112:113], v[96:97], 0// 00000000D61C: D3CD009C 0A02C170
	v_mfma_f32_16x16x16_f16 v[156:159], a[114:115], v[98:99], v[156:159]// 00000000D624: D3CD009C 0E72C572
	v_mfma_f32_16x16x16_f16 v[156:159], a[116:117], v[100:101], v[156:159]// 00000000D62C: D3CD009C 0E72C974
	v_mfma_f32_16x16x16_f16 v[156:159], a[118:119], v[102:103], v[156:159]// 00000000D634: D3CD009C 0E72CD76
	v_mfma_f32_16x16x16_f16 v[156:159], a[120:121], v[104:105], v[156:159]// 00000000D63C: D3CD009C 0E72D178
	v_mfma_f32_16x16x16_f16 v[156:159], a[122:123], v[106:107], v[156:159]// 00000000D644: D3CD009C 0E72D57A
	v_mfma_f32_16x16x16_f16 v[156:159], a[124:125], v[108:109], v[156:159]// 00000000D64C: D3CD009C 0E72D97C
	v_mfma_f32_16x16x16_f16 v[156:159], a[126:127], v[110:111], v[156:159]// 00000000D654: D3CD009C 0E72DD7E
	s_cmp_le_i32 s90, s89                                      // 00000000D65C: BF05595A
	s_cbranch_scc1 label_2D8D                                  // 00000000D660: BF850073
	v_mov_b32_e32 v55, 0xff800000                              // 00000000D664: 7E6E02FF FF800000
	s_mov_b32 s60, s90                                         // 00000000D66C: BEBC005A
	s_add_u32 s61, s89, 0xff                                   // 00000000D670: 803DFF59 000000FF
	v_mov_b32_e32 v39, s61                                     // 00000000D678: 7E4E023D
	v_lshrrev_b32_e32 v31, 4, v0                               // 00000000D67C: 203E0084
	v_mul_i32_i24_e32 v31, 4, v31                              // 00000000D680: 0C3E3E84
	v_add_u32_e32 v31, s60, v31                                // 00000000D684: 683E3E3C
	v_and_b32_e32 v40, 15, v0                                  // 00000000D688: 2650008F
	v_lshrrev_b32_e32 v40, 3, v40                              // 00000000D68C: 20505083
	s_mov_b32 s61, 2                                           // 00000000D690: BEBD0082
	s_mul_i32 s60, 16, s7                                      // 00000000D694: 923C0790
	v_add_u32_e32 v40, s61, v40                                // 00000000D698: 6850503D
	v_sub_u32_e32 v31, v31, v40                                // 00000000D69C: 6A3E511F
	v_add_u32_e32 v31, s60, v31                                // 00000000D6A0: 683E3E3C
	v_add_u32_e32 v32, 1, v31                                  // 00000000D6A4: 68403E81
	v_add_u32_e32 v33, 2, v31                                  // 00000000D6A8: 68423E82
	v_add_u32_e32 v34, 3, v31                                  // 00000000D6AC: 68443E83
	v_cmp_le_u32_e64 s[40:41], v31, v39                        // 00000000D6B0: D0CB0028 00024F1F
	v_add_u32_e32 v31, 64, v31                                 // 00000000D6B8: 683E3EC0
	s_nop 0                                                    // 00000000D6BC: BF800000
	v_cndmask_b32_e64 v144, v55, v144, s[40:41]                // 00000000D6C0: D1000090 00A32137
	v_cmp_le_u32_e64 s[40:41], v32, v39                        // 00000000D6C8: D0CB0028 00024F20
	v_add_u32_e32 v32, 64, v32                                 // 00000000D6D0: 684040C0
	s_nop 0                                                    // 00000000D6D4: BF800000
	v_cndmask_b32_e64 v145, v55, v145, s[40:41]                // 00000000D6D8: D1000091 00A32337
	v_cmp_le_u32_e64 s[40:41], v33, v39                        // 00000000D6E0: D0CB0028 00024F21
	v_add_u32_e32 v33, 64, v33                                 // 00000000D6E8: 684242C0
	s_nop 0                                                    // 00000000D6EC: BF800000
	v_cndmask_b32_e64 v146, v55, v146, s[40:41]                // 00000000D6F0: D1000092 00A32537
	v_cmp_le_u32_e64 s[40:41], v34, v39                        // 00000000D6F8: D0CB0028 00024F22
	v_add_u32_e32 v34, 64, v34                                 // 00000000D700: 684444C0
	s_nop 0                                                    // 00000000D704: BF800000
	v_cndmask_b32_e64 v147, v55, v147, s[40:41]                // 00000000D708: D1000093 00A32737
	v_cmp_le_u32_e64 s[40:41], v31, v39                        // 00000000D710: D0CB0028 00024F1F
	v_add_u32_e32 v31, 64, v31                                 // 00000000D718: 683E3EC0
	s_nop 0                                                    // 00000000D71C: BF800000
	v_cndmask_b32_e64 v148, v55, v148, s[40:41]                // 00000000D720: D1000094 00A32937
	v_cmp_le_u32_e64 s[40:41], v32, v39                        // 00000000D728: D0CB0028 00024F20
	v_add_u32_e32 v32, 64, v32                                 // 00000000D730: 684040C0
	s_nop 0                                                    // 00000000D734: BF800000
	v_cndmask_b32_e64 v149, v55, v149, s[40:41]                // 00000000D738: D1000095 00A32B37
	v_cmp_le_u32_e64 s[40:41], v33, v39                        // 00000000D740: D0CB0028 00024F21
	v_add_u32_e32 v33, 64, v33                                 // 00000000D748: 684242C0
	s_nop 0                                                    // 00000000D74C: BF800000
	v_cndmask_b32_e64 v150, v55, v150, s[40:41]                // 00000000D750: D1000096 00A32D37
	v_cmp_le_u32_e64 s[40:41], v34, v39                        // 00000000D758: D0CB0028 00024F22
	v_add_u32_e32 v34, 64, v34                                 // 00000000D760: 684444C0
	s_nop 0                                                    // 00000000D764: BF800000
	v_cndmask_b32_e64 v151, v55, v151, s[40:41]                // 00000000D768: D1000097 00A32F37
	v_cmp_le_u32_e64 s[40:41], v31, v39                        // 00000000D770: D0CB0028 00024F1F
	v_add_u32_e32 v31, 64, v31                                 // 00000000D778: 683E3EC0
	s_nop 0                                                    // 00000000D77C: BF800000
	v_cndmask_b32_e64 v152, v55, v152, s[40:41]                // 00000000D780: D1000098 00A33137
	v_cmp_le_u32_e64 s[40:41], v32, v39                        // 00000000D788: D0CB0028 00024F20
	v_add_u32_e32 v32, 64, v32                                 // 00000000D790: 684040C0
	s_nop 0                                                    // 00000000D794: BF800000
	v_cndmask_b32_e64 v153, v55, v153, s[40:41]                // 00000000D798: D1000099 00A33337
	v_cmp_le_u32_e64 s[40:41], v33, v39                        // 00000000D7A0: D0CB0028 00024F21
	v_add_u32_e32 v33, 64, v33                                 // 00000000D7A8: 684242C0
	s_nop 0                                                    // 00000000D7AC: BF800000
	v_cndmask_b32_e64 v154, v55, v154, s[40:41]                // 00000000D7B0: D100009A 00A33537
	v_cmp_le_u32_e64 s[40:41], v34, v39                        // 00000000D7B8: D0CB0028 00024F22
	v_add_u32_e32 v34, 64, v34                                 // 00000000D7C0: 684444C0
	s_nop 0                                                    // 00000000D7C4: BF800000
	v_cndmask_b32_e64 v155, v55, v155, s[40:41]                // 00000000D7C8: D100009B 00A33737
	v_cmp_le_u32_e64 s[40:41], v31, v39                        // 00000000D7D0: D0CB0028 00024F1F
	v_add_u32_e32 v31, 64, v31                                 // 00000000D7D8: 683E3EC0
	s_nop 0                                                    // 00000000D7DC: BF800000
	v_cndmask_b32_e64 v156, v55, v156, s[40:41]                // 00000000D7E0: D100009C 00A33937
	v_cmp_le_u32_e64 s[40:41], v32, v39                        // 00000000D7E8: D0CB0028 00024F20
	v_add_u32_e32 v32, 64, v32                                 // 00000000D7F0: 684040C0
	s_nop 0                                                    // 00000000D7F4: BF800000
	v_cndmask_b32_e64 v157, v55, v157, s[40:41]                // 00000000D7F8: D100009D 00A33B37
	v_cmp_le_u32_e64 s[40:41], v33, v39                        // 00000000D800: D0CB0028 00024F21
	v_add_u32_e32 v33, 64, v33                                 // 00000000D808: 684242C0
	s_nop 0                                                    // 00000000D80C: BF800000
	v_cndmask_b32_e64 v158, v55, v158, s[40:41]                // 00000000D810: D100009E 00A33D37
	v_cmp_le_u32_e64 s[40:41], v34, v39                        // 00000000D818: D0CB0028 00024F22
	v_add_u32_e32 v34, 64, v34                                 // 00000000D820: 684444C0
	s_nop 0                                                    // 00000000D824: BF800000
	v_cndmask_b32_e64 v159, v55, v159, s[40:41]                // 00000000D828: D100009F 00A33F37

000000000000d830 <label_2D8D>:
	s_add_u32 s90, s91, s90                                    // 00000000D830: 805A5A5B
	s_nop 0                                                    // 00000000D834: BF800000
	buffer_load_dwordx4 a[32:35], v25, s[16:19], 0 offen       // 00000000D838: E05C1000 80842019
	s_nop 8                                                    // 00000000D840: BF800008
	buffer_load_dwordx4 a[36:39], v25, s[16:19], 0 offen offset:1024// 00000000D844: E05C1400 80842419
	v_mov_b32_e32 v50, v112                                    // 00000000D84C: 7E640370
	v_max3_f32 v50, v112, v113, v50                            // 00000000D850: D1D30032 04CAE370
	v_max3_f32 v50, v114, v115, v50                            // 00000000D858: D1D30032 04CAE772
	v_max3_f32 v50, v116, v117, v50                            // 00000000D860: D1D30032 04CAEB74
	v_max3_f32 v50, v118, v119, v50                            // 00000000D868: D1D30032 04CAEF76
	v_max3_f32 v50, v120, v121, v50                            // 00000000D870: D1D30032 04CAF378
	v_max3_f32 v50, v122, v123, v50                            // 00000000D878: D1D30032 04CAF77A
	v_max3_f32 v50, v124, v125, v50                            // 00000000D880: D1D30032 04CAFB7C
	v_max3_f32 v50, v126, v127, v50                            // 00000000D888: D1D30032 04CAFF7E
	ds_write_b32 v11, v50                                      // 00000000D890: D81A0000 0000320B
	buffer_load_dwordx4 a[40:43], v25, s[16:19], 0 offen offset:2048// 00000000D898: E05C1800 80842819
	s_waitcnt lgkmcnt(0)                                       // 00000000D8A0: BF8CC07F
	s_barrier                                                  // 00000000D8A4: BF8A0000
	ds_read_b32 v64, v10                                       // 00000000D8A8: D86C0000 4000000A
	buffer_load_dwordx4 a[44:47], v25, s[16:19], 0 offen offset:3072// 00000000D8B0: E05C1C00 80842C19
	ds_read_b32 v65, v10 offset:64                             // 00000000D8B8: D86C0040 4100000A
	ds_read_b32 v66, v10 offset:128                            // 00000000D8C0: D86C0080 4200000A
	ds_read_b32 v67, v10 offset:192                            // 00000000D8C8: D86C00C0 4300000A
	ds_read_b32 v68, v10 offset:256                            // 00000000D8D0: D86C0100 4400000A
	ds_read_b32 v69, v10 offset:320                            // 00000000D8D8: D86C0140 4500000A
	ds_read_b32 v70, v10 offset:384                            // 00000000D8E0: D86C0180 4600000A
	ds_read_b32 v71, v10 offset:448                            // 00000000D8E8: D86C01C0 4700000A
	ds_read_b32 v72, v10 offset:512                            // 00000000D8F0: D86C0200 4800000A
	buffer_load_dwordx4 a[48:51], v26, s[16:19], 0 offen       // 00000000D8F8: E05C1000 8084301A
	ds_read_b32 v73, v10 offset:576                            // 00000000D900: D86C0240 4900000A
	ds_read_b32 v74, v10 offset:640                            // 00000000D908: D86C0280 4A00000A
	ds_read_b32 v75, v10 offset:704                            // 00000000D910: D86C02C0 4B00000A
	ds_read_b32 v76, v10 offset:768                            // 00000000D918: D86C0300 4C00000A
	ds_read_b32 v77, v10 offset:832                            // 00000000D920: D86C0340 4D00000A
	ds_read_b32 v78, v10 offset:896                            // 00000000D928: D86C0380 4E00000A
	ds_read_b32 v79, v10 offset:960                            // 00000000D930: D86C03C0 4F00000A
	buffer_load_dwordx4 a[52:55], v26, s[16:19], 0 offen offset:1024// 00000000D938: E05C1400 8084341A
	buffer_load_dwordx4 a[56:59], v26, s[16:19], 0 offen offset:2048// 00000000D940: E05C1800 8084381A
	s_waitcnt lgkmcnt(0)                                       // 00000000D948: BF8CC07F
	v_max3_f32 v50, v64, v65, v50                              // 00000000D94C: D1D30032 04CA8340
	v_max3_f32 v50, v66, v67, v50                              // 00000000D954: D1D30032 04CA8742
	v_max3_f32 v50, v68, v69, v50                              // 00000000D95C: D1D30032 04CA8B44
	v_max3_f32 v50, v70, v71, v50                              // 00000000D964: D1D30032 04CA8F46
	v_max3_f32 v50, v72, v73, v50                              // 00000000D96C: D1D30032 04CA9348
	v_max3_f32 v50, v74, v75, v50                              // 00000000D974: D1D30032 04CA974A
	v_max3_f32 v50, v76, v77, v50                              // 00000000D97C: D1D30032 04CA9B4C
	v_max3_f32 v50, v78, v79, v50                              // 00000000D984: D1D30032 04CA9F4E
	buffer_load_dwordx4 a[60:63], v26, s[16:19], 0 offen offset:3072// 00000000D98C: E05C1C00 80843C1A
	v_cmp_eq_u32_e64 s[40:41], v55, v14                        // 00000000D994: D0CA0028 00021D37
	s_nop 1                                                    // 00000000D99C: BF800001
	v_max_f32_e32 v16, v50, v14                                // 00000000D9A0: 16201D32
	v_sub_f32_e32 v51, v14, v16                                // 00000000D9A4: 0466210E
	v_cndmask_b32_e64 v51, v51, 0, s[40:41]                    // 00000000D9A8: D1000033 00A10133
	v_mov_b32_e32 v14, v16                                     // 00000000D9B0: 7E1C0310
	v_mul_f32_e32 v53, s64, v16                                // 00000000D9B4: 0A6A2040
	v_mul_f32_e32 v51, s64, v51                                // 00000000D9B8: 0A666640
	v_exp_f32_e32 v51, v51                                     // 00000000D9BC: 7E664133
	buffer_load_dwordx4 a[128:131], v192, s[20:23], 0 offen    // 00000000D9C0: E05C1000 808580C0
	v_fma_f32 v112, v112, s64, -v53                            // 00000000D9C8: D1CB0070 84D48170
	v_fma_f32 v113, v113, s64, -v53                            // 00000000D9D0: D1CB0071 84D48171
	v_fma_f32 v114, v114, s64, -v53                            // 00000000D9D8: D1CB0072 84D48172
	v_fma_f32 v115, v115, s64, -v53                            // 00000000D9E0: D1CB0073 84D48173
	v_fma_f32 v116, v116, s64, -v53                            // 00000000D9E8: D1CB0074 84D48174
	v_fma_f32 v117, v117, s64, -v53                            // 00000000D9F0: D1CB0075 84D48175
	v_fma_f32 v118, v118, s64, -v53                            // 00000000D9F8: D1CB0076 84D48176
	v_fma_f32 v119, v119, s64, -v53                            // 00000000DA00: D1CB0077 84D48177
	v_fma_f32 v120, v120, s64, -v53                            // 00000000DA08: D1CB0078 84D48178
	v_fma_f32 v121, v121, s64, -v53                            // 00000000DA10: D1CB0079 84D48179
	v_fma_f32 v122, v122, s64, -v53                            // 00000000DA18: D1CB007A 84D4817A
	v_fma_f32 v123, v123, s64, -v53                            // 00000000DA20: D1CB007B 84D4817B
	v_fma_f32 v124, v124, s64, -v53                            // 00000000DA28: D1CB007C 84D4817C
	v_fma_f32 v125, v125, s64, -v53                            // 00000000DA30: D1CB007D 84D4817D
	v_fma_f32 v126, v126, s64, -v53                            // 00000000DA38: D1CB007E 84D4817E
	v_fma_f32 v127, v127, s64, -v53                            // 00000000DA40: D1CB007F 84D4817F
	v_exp_f32_e32 v112, v112                                   // 00000000DA48: 7EE04170
	v_exp_f32_e32 v113, v113                                   // 00000000DA4C: 7EE24171
	v_exp_f32_e32 v114, v114                                   // 00000000DA50: 7EE44172
	v_exp_f32_e32 v115, v115                                   // 00000000DA54: 7EE64173
	v_exp_f32_e32 v116, v116                                   // 00000000DA58: 7EE84174
	v_exp_f32_e32 v117, v117                                   // 00000000DA5C: 7EEA4175
	v_exp_f32_e32 v118, v118                                   // 00000000DA60: 7EEC4176
	v_exp_f32_e32 v119, v119                                   // 00000000DA64: 7EEE4177
	v_exp_f32_e32 v120, v120                                   // 00000000DA68: 7EF04178
	v_exp_f32_e32 v121, v121                                   // 00000000DA6C: 7EF24179
	v_exp_f32_e32 v122, v122                                   // 00000000DA70: 7EF4417A
	v_exp_f32_e32 v123, v123                                   // 00000000DA74: 7EF6417B
	v_exp_f32_e32 v124, v124                                   // 00000000DA78: 7EF8417C
	v_exp_f32_e32 v125, v125                                   // 00000000DA7C: 7EFA417D
	v_exp_f32_e32 v126, v126                                   // 00000000DA80: 7EFC417E
	v_exp_f32_e32 v127, v127                                   // 00000000DA84: 7EFE417F
	buffer_load_dwordx4 a[132:135], v193, s[20:23], 0 offen    // 00000000DA88: E05C1000 808584C1
	v_mul_f32_e32 v43, v51, v43                                // 00000000DA90: 0A565733
	v_mov_b32_e32 v45, v112                                    // 00000000DA94: 7E5A0370
	v_add_f32_e32 v45, v113, v45                               // 00000000DA98: 025A5B71
	v_add_f32_e32 v45, v114, v45                               // 00000000DA9C: 025A5B72
	v_add_f32_e32 v45, v115, v45                               // 00000000DAA0: 025A5B73
	v_add_f32_e32 v45, v116, v45                               // 00000000DAA4: 025A5B74
	v_add_f32_e32 v45, v117, v45                               // 00000000DAA8: 025A5B75
	v_add_f32_e32 v45, v118, v45                               // 00000000DAAC: 025A5B76
	v_add_f32_e32 v45, v119, v45                               // 00000000DAB0: 025A5B77
	v_add_f32_e32 v45, v120, v45                               // 00000000DAB4: 025A5B78
	v_add_f32_e32 v45, v121, v45                               // 00000000DAB8: 025A5B79
	v_add_f32_e32 v45, v122, v45                               // 00000000DABC: 025A5B7A
	v_add_f32_e32 v45, v123, v45                               // 00000000DAC0: 025A5B7B
	v_add_f32_e32 v45, v124, v45                               // 00000000DAC4: 025A5B7C
	v_add_f32_e32 v45, v125, v45                               // 00000000DAC8: 025A5B7D
	v_add_f32_e32 v45, v126, v45                               // 00000000DACC: 025A5B7E
	v_add_f32_e32 v45, v127, v45                               // 00000000DAD0: 025A5B7F
	v_add_f32_e32 v43, v45, v43                                // 00000000DAD4: 0256572D
	buffer_load_dwordx4 a[136:139], v194, s[20:23], 0 offen    // 00000000DAD8: E05C1000 808588C2
	v_cvt_pkrtz_f16_f32 v39, v112, v113                        // 00000000DAE0: D2960027 0002E370
	v_mov_b32_e32 v112, v39                                    // 00000000DAE8: 7EE00327
	v_cvt_pkrtz_f16_f32 v39, v114, v115                        // 00000000DAEC: D2960027 0002E772
	v_mov_b32_e32 v113, v39                                    // 00000000DAF4: 7EE20327
	v_cvt_pkrtz_f16_f32 v39, v116, v117                        // 00000000DAF8: D2960027 0002EB74
	v_mov_b32_e32 v114, v39                                    // 00000000DB00: 7EE40327
	v_cvt_pkrtz_f16_f32 v39, v118, v119                        // 00000000DB04: D2960027 0002EF76
	v_mov_b32_e32 v115, v39                                    // 00000000DB0C: 7EE60327
	v_cvt_pkrtz_f16_f32 v39, v120, v121                        // 00000000DB10: D2960027 0002F378
	v_mov_b32_e32 v116, v39                                    // 00000000DB18: 7EE80327
	v_cvt_pkrtz_f16_f32 v39, v122, v123                        // 00000000DB1C: D2960027 0002F77A
	v_mov_b32_e32 v117, v39                                    // 00000000DB24: 7EEA0327
	v_cvt_pkrtz_f16_f32 v39, v124, v125                        // 00000000DB28: D2960027 0002FB7C
	v_mov_b32_e32 v118, v39                                    // 00000000DB30: 7EEC0327
	v_cvt_pkrtz_f16_f32 v39, v126, v127                        // 00000000DB34: D2960027 0002FF7E
	v_mov_b32_e32 v119, v39                                    // 00000000DB3C: 7EEE0327
	buffer_load_dwordx4 a[140:143], v195, s[20:23], 0 offen    // 00000000DB40: E05C1000 80858CC3
	buffer_load_dwordx4 a[144:147], v196, s[20:23], 0 offen    // 00000000DB48: E05C1000 808590C4
	ds_write_b64 v13, v[112:113] offset:4096                   // 00000000DB50: D89A1000 0000700D
	ds_write_b64 v13, v[114:115] offset:6144                   // 00000000DB58: D89A1800 0000720D
	ds_write_b64 v13, v[116:117] offset:8192                   // 00000000DB60: D89A2000 0000740D
	ds_write_b64 v13, v[118:119] offset:10240                  // 00000000DB68: D89A2800 0000760D
	buffer_load_dwordx4 a[148:151], v197, s[20:23], 0 offen    // 00000000DB70: E05C1000 808594C5
	s_waitcnt lgkmcnt(0)                                       // 00000000DB78: BF8CC07F
	s_barrier                                                  // 00000000DB7C: BF8A0000
	ds_read_b64 v[112:113], v12 offset:4096                    // 00000000DB80: D8EC1000 7000000C
	ds_read_b64 v[114:115], v12 offset:4224                    // 00000000DB88: D8EC1080 7200000C
	ds_read_b64 v[116:117], v12 offset:5120                    // 00000000DB90: D8EC1400 7400000C
	ds_read_b64 v[118:119], v12 offset:5248                    // 00000000DB98: D8EC1480 7600000C
	ds_read_b64 v[120:121], v12 offset:6144                    // 00000000DBA0: D8EC1800 7800000C
	ds_read_b64 v[122:123], v12 offset:6272                    // 00000000DBA8: D8EC1880 7A00000C
	ds_read_b64 v[124:125], v12 offset:7168                    // 00000000DBB0: D8EC1C00 7C00000C
	ds_read_b64 v[126:127], v12 offset:7296                    // 00000000DBB8: D8EC1C80 7E00000C
	ds_read_b64 v[128:129], v12 offset:8192                    // 00000000DBC0: D8EC2000 8000000C
	ds_read_b64 v[130:131], v12 offset:8320                    // 00000000DBC8: D8EC2080 8200000C
	ds_read_b64 v[132:133], v12 offset:9216                    // 00000000DBD0: D8EC2400 8400000C
	ds_read_b64 v[134:135], v12 offset:9344                    // 00000000DBD8: D8EC2480 8600000C
	ds_read_b64 v[136:137], v12 offset:10240                   // 00000000DBE0: D8EC2800 8800000C
	ds_read_b64 v[138:139], v12 offset:10368                   // 00000000DBE8: D8EC2880 8A00000C
	ds_read_b64 v[140:141], v12 offset:11264                   // 00000000DBF0: D8EC2C00 8C00000C
	ds_read_b64 v[142:143], v12 offset:11392                   // 00000000DBF8: D8EC2C80 8E00000C
	buffer_load_dwordx4 a[152:155], v198, s[20:23], 0 offen    // 00000000DC00: E05C1000 808598C6
	buffer_load_dwordx4 a[156:159], v199, s[20:23], 0 offen    // 00000000DC08: E05C1000 80859CC7
	s_waitcnt lgkmcnt(0)                                       // 00000000DC10: BF8CC07F
	s_nop 8                                                    // 00000000DC14: BF800008
	v_mov_b32_e32 v50, v144                                    // 00000000DC18: 7E640390
	v_max3_f32 v50, v144, v145, v50                            // 00000000DC1C: D1D30032 04CB2390
	v_max3_f32 v50, v146, v147, v50                            // 00000000DC24: D1D30032 04CB2792
	v_max3_f32 v50, v148, v149, v50                            // 00000000DC2C: D1D30032 04CB2B94
	v_max3_f32 v50, v150, v151, v50                            // 00000000DC34: D1D30032 04CB2F96
	v_max3_f32 v50, v152, v153, v50                            // 00000000DC3C: D1D30032 04CB3398
	v_max3_f32 v50, v154, v155, v50                            // 00000000DC44: D1D30032 04CB379A
	v_max3_f32 v50, v156, v157, v50                            // 00000000DC4C: D1D30032 04CB3B9C
	v_max3_f32 v50, v158, v159, v50                            // 00000000DC54: D1D30032 04CB3F9E
	ds_write_b32 v11, v50                                      // 00000000DC5C: D81A0000 0000320B
	s_waitcnt lgkmcnt(0)                                       // 00000000DC64: BF8CC07F
	s_barrier                                                  // 00000000DC68: BF8A0000
	ds_read_b32 v64, v10                                       // 00000000DC6C: D86C0000 4000000A
	ds_read_b32 v65, v10 offset:64                             // 00000000DC74: D86C0040 4100000A
	ds_read_b32 v66, v10 offset:128                            // 00000000DC7C: D86C0080 4200000A
	ds_read_b32 v67, v10 offset:192                            // 00000000DC84: D86C00C0 4300000A
	ds_read_b32 v68, v10 offset:256                            // 00000000DC8C: D86C0100 4400000A
	ds_read_b32 v69, v10 offset:320                            // 00000000DC94: D86C0140 4500000A
	ds_read_b32 v70, v10 offset:384                            // 00000000DC9C: D86C0180 4600000A
	ds_read_b32 v71, v10 offset:448                            // 00000000DCA4: D86C01C0 4700000A
	ds_read_b32 v72, v10 offset:512                            // 00000000DCAC: D86C0200 4800000A
	ds_read_b32 v73, v10 offset:576                            // 00000000DCB4: D86C0240 4900000A
	ds_read_b32 v74, v10 offset:640                            // 00000000DCBC: D86C0280 4A00000A
	ds_read_b32 v75, v10 offset:704                            // 00000000DCC4: D86C02C0 4B00000A
	ds_read_b32 v76, v10 offset:768                            // 00000000DCCC: D86C0300 4C00000A
	ds_read_b32 v77, v10 offset:832                            // 00000000DCD4: D86C0340 4D00000A
	ds_read_b32 v78, v10 offset:896                            // 00000000DCDC: D86C0380 4E00000A
	ds_read_b32 v79, v10 offset:960                            // 00000000DCE4: D86C03C0 4F00000A
	s_waitcnt lgkmcnt(0)                                       // 00000000DCEC: BF8CC07F
	v_max3_f32 v50, v64, v65, v50                              // 00000000DCF0: D1D30032 04CA8340
	v_max3_f32 v50, v66, v67, v50                              // 00000000DCF8: D1D30032 04CA8742
	v_max3_f32 v50, v68, v69, v50                              // 00000000DD00: D1D30032 04CA8B44
	v_max3_f32 v50, v70, v71, v50                              // 00000000DD08: D1D30032 04CA8F46
	v_max3_f32 v50, v72, v73, v50                              // 00000000DD10: D1D30032 04CA9348
	v_max3_f32 v50, v74, v75, v50                              // 00000000DD18: D1D30032 04CA974A
	v_max3_f32 v50, v76, v77, v50                              // 00000000DD20: D1D30032 04CA9B4C
	v_max3_f32 v50, v78, v79, v50                              // 00000000DD28: D1D30032 04CA9F4E
	v_cmp_eq_u32_e64 s[40:41], v55, v15                        // 00000000DD30: D0CA0028 00021F37
	s_nop 1                                                    // 00000000DD38: BF800001
	v_max_f32_e32 v16, v50, v15                                // 00000000DD3C: 16201F32
	v_sub_f32_e32 v52, v15, v16                                // 00000000DD40: 0468210F
	v_cndmask_b32_e64 v52, v52, 0, s[40:41]                    // 00000000DD44: D1000034 00A10134
	v_mov_b32_e32 v15, v16                                     // 00000000DD4C: 7E1E0310
	v_mul_f32_e32 v53, s64, v16                                // 00000000DD50: 0A6A2040
	v_mul_f32_e32 v52, s64, v52                                // 00000000DD54: 0A686840
	v_exp_f32_e32 v52, v52                                     // 00000000DD58: 7E684134
	v_fma_f32 v144, v144, s64, -v53                            // 00000000DD5C: D1CB0090 84D48190
	v_fma_f32 v145, v145, s64, -v53                            // 00000000DD64: D1CB0091 84D48191
	v_fma_f32 v146, v146, s64, -v53                            // 00000000DD6C: D1CB0092 84D48192
	v_fma_f32 v147, v147, s64, -v53                            // 00000000DD74: D1CB0093 84D48193
	v_fma_f32 v148, v148, s64, -v53                            // 00000000DD7C: D1CB0094 84D48194
	v_fma_f32 v149, v149, s64, -v53                            // 00000000DD84: D1CB0095 84D48195
	v_fma_f32 v150, v150, s64, -v53                            // 00000000DD8C: D1CB0096 84D48196
	v_fma_f32 v151, v151, s64, -v53                            // 00000000DD94: D1CB0097 84D48197
	v_fma_f32 v152, v152, s64, -v53                            // 00000000DD9C: D1CB0098 84D48198
	v_fma_f32 v153, v153, s64, -v53                            // 00000000DDA4: D1CB0099 84D48199
	v_fma_f32 v154, v154, s64, -v53                            // 00000000DDAC: D1CB009A 84D4819A
	v_fma_f32 v155, v155, s64, -v53                            // 00000000DDB4: D1CB009B 84D4819B
	v_fma_f32 v156, v156, s64, -v53                            // 00000000DDBC: D1CB009C 84D4819C
	v_fma_f32 v157, v157, s64, -v53                            // 00000000DDC4: D1CB009D 84D4819D
	v_fma_f32 v158, v158, s64, -v53                            // 00000000DDCC: D1CB009E 84D4819E
	v_fma_f32 v159, v159, s64, -v53                            // 00000000DDD4: D1CB009F 84D4819F
	v_exp_f32_e32 v144, v144                                   // 00000000DDDC: 7F204190
	v_exp_f32_e32 v145, v145                                   // 00000000DDE0: 7F224191
	v_exp_f32_e32 v146, v146                                   // 00000000DDE4: 7F244192
	v_exp_f32_e32 v147, v147                                   // 00000000DDE8: 7F264193
	v_exp_f32_e32 v148, v148                                   // 00000000DDEC: 7F284194
	v_exp_f32_e32 v149, v149                                   // 00000000DDF0: 7F2A4195
	v_exp_f32_e32 v150, v150                                   // 00000000DDF4: 7F2C4196
	v_exp_f32_e32 v151, v151                                   // 00000000DDF8: 7F2E4197
	v_exp_f32_e32 v152, v152                                   // 00000000DDFC: 7F304198
	v_exp_f32_e32 v153, v153                                   // 00000000DE00: 7F324199
	v_exp_f32_e32 v154, v154                                   // 00000000DE04: 7F34419A
	v_exp_f32_e32 v155, v155                                   // 00000000DE08: 7F36419B
	v_exp_f32_e32 v156, v156                                   // 00000000DE0C: 7F38419C
	v_exp_f32_e32 v157, v157                                   // 00000000DE10: 7F3A419D
	v_exp_f32_e32 v158, v158                                   // 00000000DE14: 7F3C419E
	v_exp_f32_e32 v159, v159                                   // 00000000DE18: 7F3E419F
	v_mul_f32_e32 v44, v52, v44                                // 00000000DE1C: 0A585934
	v_mov_b32_e32 v45, v144                                    // 00000000DE20: 7E5A0390
	v_add_f32_e32 v45, v145, v45                               // 00000000DE24: 025A5B91
	v_add_f32_e32 v45, v146, v45                               // 00000000DE28: 025A5B92
	v_add_f32_e32 v45, v147, v45                               // 00000000DE2C: 025A5B93
	v_add_f32_e32 v45, v148, v45                               // 00000000DE30: 025A5B94
	v_add_f32_e32 v45, v149, v45                               // 00000000DE34: 025A5B95
	v_add_f32_e32 v45, v150, v45                               // 00000000DE38: 025A5B96
	v_add_f32_e32 v45, v151, v45                               // 00000000DE3C: 025A5B97
	v_add_f32_e32 v45, v152, v45                               // 00000000DE40: 025A5B98
	v_add_f32_e32 v45, v153, v45                               // 00000000DE44: 025A5B99
	v_add_f32_e32 v45, v154, v45                               // 00000000DE48: 025A5B9A
	v_add_f32_e32 v45, v155, v45                               // 00000000DE4C: 025A5B9B
	v_add_f32_e32 v45, v156, v45                               // 00000000DE50: 025A5B9C
	v_add_f32_e32 v45, v157, v45                               // 00000000DE54: 025A5B9D
	v_add_f32_e32 v45, v158, v45                               // 00000000DE58: 025A5B9E
	v_add_f32_e32 v45, v159, v45                               // 00000000DE5C: 025A5B9F
	v_add_f32_e32 v44, v45, v44                                // 00000000DE60: 0258592D
	v_cvt_pkrtz_f16_f32 v39, v144, v145                        // 00000000DE64: D2960027 00032390
	v_mov_b32_e32 v144, v39                                    // 00000000DE6C: 7F200327
	v_cvt_pkrtz_f16_f32 v39, v146, v147                        // 00000000DE70: D2960027 00032792
	v_mov_b32_e32 v145, v39                                    // 00000000DE78: 7F220327
	v_cvt_pkrtz_f16_f32 v39, v148, v149                        // 00000000DE7C: D2960027 00032B94
	v_mov_b32_e32 v146, v39                                    // 00000000DE84: 7F240327
	v_cvt_pkrtz_f16_f32 v39, v150, v151                        // 00000000DE88: D2960027 00032F96
	v_mov_b32_e32 v147, v39                                    // 00000000DE90: 7F260327
	v_cvt_pkrtz_f16_f32 v39, v152, v153                        // 00000000DE94: D2960027 00033398
	v_mov_b32_e32 v148, v39                                    // 00000000DE9C: 7F280327
	v_cvt_pkrtz_f16_f32 v39, v154, v155                        // 00000000DEA0: D2960027 0003379A
	v_mov_b32_e32 v149, v39                                    // 00000000DEA8: 7F2A0327
	v_cvt_pkrtz_f16_f32 v39, v156, v157                        // 00000000DEAC: D2960027 00033B9C
	v_mov_b32_e32 v150, v39                                    // 00000000DEB4: 7F2C0327
	v_cvt_pkrtz_f16_f32 v39, v158, v159                        // 00000000DEB8: D2960027 00033F9E
	v_mov_b32_e32 v151, v39                                    // 00000000DEC0: 7F2E0327
	ds_write_b64 v13, v[144:145] offset:4096                   // 00000000DEC4: D89A1000 0000900D
	ds_write_b64 v13, v[146:147] offset:6144                   // 00000000DECC: D89A1800 0000920D
	ds_write_b64 v13, v[148:149] offset:8192                   // 00000000DED4: D89A2000 0000940D
	ds_write_b64 v13, v[150:151] offset:10240                  // 00000000DEDC: D89A2800 0000960D
	s_waitcnt lgkmcnt(0)                                       // 00000000DEE4: BF8CC07F
	s_barrier                                                  // 00000000DEE8: BF8A0000
	ds_read_b64 v[144:145], v12 offset:4096                    // 00000000DEEC: D8EC1000 9000000C
	ds_read_b64 v[146:147], v12 offset:4224                    // 00000000DEF4: D8EC1080 9200000C
	ds_read_b64 v[148:149], v12 offset:5120                    // 00000000DEFC: D8EC1400 9400000C
	ds_read_b64 v[150:151], v12 offset:5248                    // 00000000DF04: D8EC1480 9600000C
	ds_read_b64 v[152:153], v12 offset:6144                    // 00000000DF0C: D8EC1800 9800000C
	ds_read_b64 v[154:155], v12 offset:6272                    // 00000000DF14: D8EC1880 9A00000C
	ds_read_b64 v[156:157], v12 offset:7168                    // 00000000DF1C: D8EC1C00 9C00000C
	ds_read_b64 v[158:159], v12 offset:7296                    // 00000000DF24: D8EC1C80 9E00000C
	ds_read_b64 v[160:161], v12 offset:8192                    // 00000000DF2C: D8EC2000 A000000C
	ds_read_b64 v[162:163], v12 offset:8320                    // 00000000DF34: D8EC2080 A200000C
	ds_read_b64 v[164:165], v12 offset:9216                    // 00000000DF3C: D8EC2400 A400000C
	ds_read_b64 v[166:167], v12 offset:9344                    // 00000000DF44: D8EC2480 A600000C
	ds_read_b64 v[168:169], v12 offset:10240                   // 00000000DF4C: D8EC2800 A800000C
	ds_read_b64 v[170:171], v12 offset:10368                   // 00000000DF54: D8EC2880 AA00000C
	ds_read_b64 v[172:173], v12 offset:11264                   // 00000000DF5C: D8EC2C00 AC00000C
	ds_read_b64 v[174:175], v12 offset:11392                   // 00000000DF64: D8EC2C80 AE00000C
	s_waitcnt lgkmcnt(0)                                       // 00000000DF6C: BF8CC07F
	v_mul_f32_e32 v176, v51, v176                              // 00000000DF70: 0B616133
	v_mul_f32_e32 v177, v51, v177                              // 00000000DF74: 0B636333
	v_mul_f32_e32 v178, v51, v178                              // 00000000DF78: 0B656533
	v_mul_f32_e32 v179, v51, v179                              // 00000000DF7C: 0B676733
	v_mul_f32_e32 v180, v51, v180                              // 00000000DF80: 0B696933
	v_mul_f32_e32 v181, v51, v181                              // 00000000DF84: 0B6B6B33
	v_mul_f32_e32 v182, v51, v182                              // 00000000DF88: 0B6D6D33
	v_mul_f32_e32 v183, v51, v183                              // 00000000DF8C: 0B6F6F33
	v_mul_f32_e32 v184, v52, v184                              // 00000000DF90: 0B717134
	v_mul_f32_e32 v185, v52, v185                              // 00000000DF94: 0B737334
	v_mul_f32_e32 v186, v52, v186                              // 00000000DF98: 0B757534
	v_mul_f32_e32 v187, v52, v187                              // 00000000DF9C: 0B777734
	v_mul_f32_e32 v188, v52, v188                              // 00000000DFA0: 0B797934
	v_mul_f32_e32 v189, v52, v189                              // 00000000DFA4: 0B7B7B34
	v_mul_f32_e32 v190, v52, v190                              // 00000000DFA8: 0B7D7D34
	v_mul_f32_e32 v191, v52, v191                              // 00000000DFAC: 0B7F7F34
	s_waitcnt vmcnt(24)                                        // 00000000DFB0: BF8C4F78
	v_mfma_f32_16x16x16_f16 v[176:179], a[192:193], v[112:113], v[176:179]// 00000000DFB4: D3CD00B0 0EC2E1C0
	buffer_load_dwordx4 a[160:163], v192, s[20:23], 0 offen offset:1024// 00000000DFBC: E05C1400 8085A0C0
	v_mfma_f32_16x16x16_f16 v[176:179], a[194:195], v[114:115], v[176:179]// 00000000DFC4: D3CD00B0 0EC2E5C2
	v_mfma_f32_16x16x16_f16 v[176:179], a[196:197], v[116:117], v[176:179]// 00000000DFCC: D3CD00B0 0EC2E9C4
	v_mfma_f32_16x16x16_f16 v[176:179], a[198:199], v[118:119], v[176:179]// 00000000DFD4: D3CD00B0 0EC2EDC6
	v_mfma_f32_16x16x16_f16 v[176:179], a[200:201], v[120:121], v[176:179]// 00000000DFDC: D3CD00B0 0EC2F1C8
	buffer_load_dwordx4 a[164:167], v193, s[20:23], 0 offen offset:1024// 00000000DFE4: E05C1400 8085A4C1
	v_mfma_f32_16x16x16_f16 v[176:179], a[202:203], v[122:123], v[176:179]// 00000000DFEC: D3CD00B0 0EC2F5CA
	v_mfma_f32_16x16x16_f16 v[176:179], a[204:205], v[124:125], v[176:179]// 00000000DFF4: D3CD00B0 0EC2F9CC
	v_mfma_f32_16x16x16_f16 v[176:179], a[206:207], v[126:127], v[176:179]// 00000000DFFC: D3CD00B0 0EC2FDCE
	v_mfma_f32_16x16x16_f16 v[176:179], a[208:209], v[128:129], v[176:179]// 00000000E004: D3CD00B0 0EC301D0
	buffer_load_dwordx4 a[168:171], v194, s[20:23], 0 offen offset:1024// 00000000E00C: E05C1400 8085A8C2
	v_mfma_f32_16x16x16_f16 v[176:179], a[210:211], v[130:131], v[176:179]// 00000000E014: D3CD00B0 0EC305D2
	v_mfma_f32_16x16x16_f16 v[176:179], a[212:213], v[132:133], v[176:179]// 00000000E01C: D3CD00B0 0EC309D4
	v_mfma_f32_16x16x16_f16 v[176:179], a[214:215], v[134:135], v[176:179]// 00000000E024: D3CD00B0 0EC30DD6
	v_mfma_f32_16x16x16_f16 v[176:179], a[216:217], v[136:137], v[176:179]// 00000000E02C: D3CD00B0 0EC311D8
	buffer_load_dwordx4 a[172:175], v195, s[20:23], 0 offen offset:1024// 00000000E034: E05C1400 8085ACC3
	v_mfma_f32_16x16x16_f16 v[176:179], a[218:219], v[138:139], v[176:179]// 00000000E03C: D3CD00B0 0EC315DA
	v_mfma_f32_16x16x16_f16 v[176:179], a[220:221], v[140:141], v[176:179]// 00000000E044: D3CD00B0 0EC319DC
	v_mfma_f32_16x16x16_f16 v[176:179], a[222:223], v[142:143], v[176:179]// 00000000E04C: D3CD00B0 0EC31DDE
	v_mfma_f32_16x16x16_f16 v[180:183], a[224:225], v[112:113], v[180:183]// 00000000E054: D3CD00B4 0ED2E1E0
	buffer_load_dwordx4 a[176:179], v196, s[20:23], 0 offen offset:1024// 00000000E05C: E05C1400 8085B0C4
	v_mfma_f32_16x16x16_f16 v[180:183], a[226:227], v[114:115], v[180:183]// 00000000E064: D3CD00B4 0ED2E5E2
	v_mfma_f32_16x16x16_f16 v[180:183], a[228:229], v[116:117], v[180:183]// 00000000E06C: D3CD00B4 0ED2E9E4
	v_mfma_f32_16x16x16_f16 v[180:183], a[230:231], v[118:119], v[180:183]// 00000000E074: D3CD00B4 0ED2EDE6
	v_mfma_f32_16x16x16_f16 v[180:183], a[232:233], v[120:121], v[180:183]// 00000000E07C: D3CD00B4 0ED2F1E8
	buffer_load_dwordx4 a[180:183], v197, s[20:23], 0 offen offset:1024// 00000000E084: E05C1400 8085B4C5
	v_mfma_f32_16x16x16_f16 v[180:183], a[234:235], v[122:123], v[180:183]// 00000000E08C: D3CD00B4 0ED2F5EA
	v_mfma_f32_16x16x16_f16 v[180:183], a[236:237], v[124:125], v[180:183]// 00000000E094: D3CD00B4 0ED2F9EC
	v_mfma_f32_16x16x16_f16 v[180:183], a[238:239], v[126:127], v[180:183]// 00000000E09C: D3CD00B4 0ED2FDEE
	v_mfma_f32_16x16x16_f16 v[180:183], a[240:241], v[128:129], v[180:183]// 00000000E0A4: D3CD00B4 0ED301F0
	buffer_load_dwordx4 a[184:187], v198, s[20:23], 0 offen offset:1024// 00000000E0AC: E05C1400 8085B8C6
	v_mfma_f32_16x16x16_f16 v[180:183], a[242:243], v[130:131], v[180:183]// 00000000E0B4: D3CD00B4 0ED305F2
	v_mfma_f32_16x16x16_f16 v[180:183], a[244:245], v[132:133], v[180:183]// 00000000E0BC: D3CD00B4 0ED309F4
	v_mfma_f32_16x16x16_f16 v[180:183], a[246:247], v[134:135], v[180:183]// 00000000E0C4: D3CD00B4 0ED30DF6
	v_mfma_f32_16x16x16_f16 v[180:183], a[248:249], v[136:137], v[180:183]// 00000000E0CC: D3CD00B4 0ED311F8
	buffer_load_dwordx4 a[188:191], v199, s[20:23], 0 offen offset:1024// 00000000E0D4: E05C1400 8085BCC7
	v_mfma_f32_16x16x16_f16 v[180:183], a[250:251], v[138:139], v[180:183]// 00000000E0DC: D3CD00B4 0ED315FA
	v_mfma_f32_16x16x16_f16 v[180:183], a[252:253], v[140:141], v[180:183]// 00000000E0E4: D3CD00B4 0ED319FC
	v_mfma_f32_16x16x16_f16 v[180:183], a[254:255], v[142:143], v[180:183]// 00000000E0EC: D3CD00B4 0ED31DFE
	v_mfma_f32_16x16x16_f16 v[184:187], a[192:193], v[144:145], v[184:187]// 00000000E0F4: D3CD00B8 0EE321C0
	v_mfma_f32_16x16x16_f16 v[184:187], a[194:195], v[146:147], v[184:187]// 00000000E0FC: D3CD00B8 0EE325C2
	v_mfma_f32_16x16x16_f16 v[184:187], a[196:197], v[148:149], v[184:187]// 00000000E104: D3CD00B8 0EE329C4
	v_mfma_f32_16x16x16_f16 v[184:187], a[198:199], v[150:151], v[184:187]// 00000000E10C: D3CD00B8 0EE32DC6
	v_mfma_f32_16x16x16_f16 v[184:187], a[200:201], v[152:153], v[184:187]// 00000000E114: D3CD00B8 0EE331C8
	v_mfma_f32_16x16x16_f16 v[184:187], a[202:203], v[154:155], v[184:187]// 00000000E11C: D3CD00B8 0EE335CA
	v_mfma_f32_16x16x16_f16 v[184:187], a[204:205], v[156:157], v[184:187]// 00000000E124: D3CD00B8 0EE339CC
	v_mfma_f32_16x16x16_f16 v[184:187], a[206:207], v[158:159], v[184:187]// 00000000E12C: D3CD00B8 0EE33DCE
	v_mfma_f32_16x16x16_f16 v[184:187], a[208:209], v[160:161], v[184:187]// 00000000E134: D3CD00B8 0EE341D0
	v_mfma_f32_16x16x16_f16 v[184:187], a[210:211], v[162:163], v[184:187]// 00000000E13C: D3CD00B8 0EE345D2
	v_mfma_f32_16x16x16_f16 v[184:187], a[212:213], v[164:165], v[184:187]// 00000000E144: D3CD00B8 0EE349D4
	v_mfma_f32_16x16x16_f16 v[184:187], a[214:215], v[166:167], v[184:187]// 00000000E14C: D3CD00B8 0EE34DD6
	v_mfma_f32_16x16x16_f16 v[184:187], a[216:217], v[168:169], v[184:187]// 00000000E154: D3CD00B8 0EE351D8
	v_mfma_f32_16x16x16_f16 v[184:187], a[218:219], v[170:171], v[184:187]// 00000000E15C: D3CD00B8 0EE355DA
	v_mfma_f32_16x16x16_f16 v[184:187], a[220:221], v[172:173], v[184:187]// 00000000E164: D3CD00B8 0EE359DC
	v_mfma_f32_16x16x16_f16 v[184:187], a[222:223], v[174:175], v[184:187]// 00000000E16C: D3CD00B8 0EE35DDE
	v_mfma_f32_16x16x16_f16 v[188:191], a[224:225], v[144:145], v[188:191]// 00000000E174: D3CD00BC 0EF321E0
	v_mfma_f32_16x16x16_f16 v[188:191], a[226:227], v[146:147], v[188:191]// 00000000E17C: D3CD00BC 0EF325E2
	v_mfma_f32_16x16x16_f16 v[188:191], a[228:229], v[148:149], v[188:191]// 00000000E184: D3CD00BC 0EF329E4
	v_mfma_f32_16x16x16_f16 v[188:191], a[230:231], v[150:151], v[188:191]// 00000000E18C: D3CD00BC 0EF32DE6
	v_mfma_f32_16x16x16_f16 v[188:191], a[232:233], v[152:153], v[188:191]// 00000000E194: D3CD00BC 0EF331E8
	v_mfma_f32_16x16x16_f16 v[188:191], a[234:235], v[154:155], v[188:191]// 00000000E19C: D3CD00BC 0EF335EA
	v_mfma_f32_16x16x16_f16 v[188:191], a[236:237], v[156:157], v[188:191]// 00000000E1A4: D3CD00BC 0EF339EC
	v_mfma_f32_16x16x16_f16 v[188:191], a[238:239], v[158:159], v[188:191]// 00000000E1AC: D3CD00BC 0EF33DEE
	v_mfma_f32_16x16x16_f16 v[188:191], a[240:241], v[160:161], v[188:191]// 00000000E1B4: D3CD00BC 0EF341F0
	v_mfma_f32_16x16x16_f16 v[188:191], a[242:243], v[162:163], v[188:191]// 00000000E1BC: D3CD00BC 0EF345F2
	v_mfma_f32_16x16x16_f16 v[188:191], a[244:245], v[164:165], v[188:191]// 00000000E1C4: D3CD00BC 0EF349F4
	v_mfma_f32_16x16x16_f16 v[188:191], a[246:247], v[166:167], v[188:191]// 00000000E1CC: D3CD00BC 0EF34DF6
	v_mfma_f32_16x16x16_f16 v[188:191], a[248:249], v[168:169], v[188:191]// 00000000E1D4: D3CD00BC 0EF351F8
	v_mfma_f32_16x16x16_f16 v[188:191], a[250:251], v[170:171], v[188:191]// 00000000E1DC: D3CD00BC 0EF355FA
	v_mfma_f32_16x16x16_f16 v[188:191], a[252:253], v[172:173], v[188:191]// 00000000E1E4: D3CD00BC 0EF359FC
	v_mfma_f32_16x16x16_f16 v[188:191], a[254:255], v[174:175], v[188:191]// 00000000E1EC: D3CD00BC 0EF35DFE
	s_lshr_b32 s60, s70, 4                                     // 00000000E1F4: 8F3C8446
	s_add_u32 s60, 48, s60                                     // 00000000E1F8: 803C3CB0
	s_cmp_ge_u32 s60, s73                                      // 00000000E1FC: BF09493C
	s_cselect_b32 s56, 0, s56                                  // 00000000E200: 85383880
	v_mul_u32_u24_dpp v39, v18, v54 row_newbcast:0 row_mask:0xf bank_mask:0xf// 00000000E204: 104E6CFA FF015012
	v_mul_u32_u24_dpp v40, v18, v54 row_newbcast:4 row_mask:0xf bank_mask:0xf// 00000000E20C: 10506CFA FF015412
	v_mul_u32_u24_dpp v41, v18, v54 row_newbcast:8 row_mask:0xf bank_mask:0xf// 00000000E214: 10526CFA FF015812
	v_mul_u32_u24_dpp v42, v18, v54 row_newbcast:12 row_mask:0xf bank_mask:0xf// 00000000E21C: 10546CFA FF015C12
	v_add_u32_e32 v27, v39, v6                                 // 00000000E224: 68360D27
	v_add_u32_e32 v28, v40, v6                                 // 00000000E228: 68380D28
	v_add_u32_e32 v29, v41, v6                                 // 00000000E22C: 683A0D29
	v_add_u32_e32 v30, v42, v6                                 // 00000000E230: 683C0D2A
	v_mul_u32_u24_dpp v39, v18, v54 row_newbcast:1 row_mask:0xf bank_mask:0xf// 00000000E234: 104E6CFA FF015112
	v_mul_u32_u24_dpp v40, v18, v54 row_newbcast:2 row_mask:0xf bank_mask:0xf// 00000000E23C: 10506CFA FF015212
	v_mul_u32_u24_dpp v41, v18, v54 row_newbcast:5 row_mask:0xf bank_mask:0xf// 00000000E244: 10526CFA FF015512
	v_mul_u32_u24_dpp v42, v18, v54 row_newbcast:6 row_mask:0xf bank_mask:0xf// 00000000E24C: 10546CFA FF015612
	v_add_u32_e32 v200, v39, v7                                // 00000000E254: 69900F27
	v_add_u32_e32 v201, v40, v7                                // 00000000E258: 69920F28
	v_add_u32_e32 v202, v41, v7                                // 00000000E25C: 69940F29
	v_add_u32_e32 v203, v42, v7                                // 00000000E260: 69960F2A
	v_mul_u32_u24_dpp v39, v18, v54 row_newbcast:9 row_mask:0xf bank_mask:0xf// 00000000E264: 104E6CFA FF015912
	v_mul_u32_u24_dpp v40, v18, v54 row_newbcast:10 row_mask:0xf bank_mask:0xf// 00000000E26C: 10506CFA FF015A12
	v_mul_u32_u24_dpp v41, v18, v54 row_newbcast:13 row_mask:0xf bank_mask:0xf// 00000000E274: 10526CFA FF015D12
	v_mul_u32_u24_dpp v42, v18, v54 row_newbcast:7 row_mask:0xf bank_mask:0xf// 00000000E27C: 10546CFA FF015712
	v_add_u32_e32 v204, v39, v7                                // 00000000E284: 69980F27
	v_add_u32_e32 v205, v40, v7                                // 00000000E288: 699A0F28
	v_add_u32_e32 v206, v41, v7                                // 00000000E28C: 699C0F29
	v_add_u32_e32 v207, v42, v7                                // 00000000E290: 699E0F2A
	v_add_u32_e32 v1, s56, v1                                  // 00000000E294: 68020238
	s_addk_i32 s70, 0x100                                      // 00000000E298: B7460100
	s_cmp_lt_i32 s70, s71                                      // 00000000E29C: BF044746
	s_cbranch_scc0 label_27F1                                  // 00000000E2A0: BF84F7C7
	s_branch label_27F4                                        // 00000000E2A4: BF82F7C9

000000000000e2a8 <label_302B>:
	s_lshr_b32 s60, s71, 4                                     // 00000000E2A8: 8F3C8447
	s_cmp_eq_i32 s60, s73                                      // 00000000E2AC: BF00493C
	s_cbranch_scc1 label_393C                                  // 00000000E2B0: BF85090E

000000000000e2b4 <label_302E>:
	s_lshr_b32 s60, s71, 8                                     // 00000000E2B4: 8F3C8847
	s_and_b32 s60, s60, 1                                      // 00000000E2B8: 863C813C
	s_cmp_eq_i32 s60, 1                                        // 00000000E2BC: BF00813C
	s_cbranch_scc1 label_34B7                                  // 00000000E2C0: BF850485
	s_waitcnt vmcnt(16) lgkmcnt(0)                             // 00000000E2C4: BF8C4070
	s_barrier                                                  // 00000000E2C8: BF8A0000
	v_mfma_f32_16x16x16_f16 v[112:115], a[0:1], v[80:81], 0    // 00000000E2CC: D3CD0070 0A02A100
	v_mfma_f32_16x16x16_f16 v[112:115], a[2:3], v[82:83], v[112:115]// 00000000E2D4: D3CD0070 0DC2A502
	v_mfma_f32_16x16x16_f16 v[112:115], a[4:5], v[84:85], v[112:115]// 00000000E2DC: D3CD0070 0DC2A904
	v_mfma_f32_16x16x16_f16 v[112:115], a[6:7], v[86:87], v[112:115]// 00000000E2E4: D3CD0070 0DC2AD06
	v_mfma_f32_16x16x16_f16 v[112:115], a[8:9], v[88:89], v[112:115]// 00000000E2EC: D3CD0070 0DC2B108
	v_mfma_f32_16x16x16_f16 v[112:115], a[10:11], v[90:91], v[112:115]// 00000000E2F4: D3CD0070 0DC2B50A
	v_mfma_f32_16x16x16_f16 v[112:115], a[12:13], v[92:93], v[112:115]// 00000000E2FC: D3CD0070 0DC2B90C
	v_mfma_f32_16x16x16_f16 v[112:115], a[14:15], v[94:95], v[112:115]// 00000000E304: D3CD0070 0DC2BD0E
	v_mfma_f32_16x16x16_f16 v[116:119], a[16:17], v[80:81], 0  // 00000000E30C: D3CD0074 0A02A110
	v_mfma_f32_16x16x16_f16 v[116:119], a[18:19], v[82:83], v[116:119]// 00000000E314: D3CD0074 0DD2A512
	v_mfma_f32_16x16x16_f16 v[116:119], a[20:21], v[84:85], v[116:119]// 00000000E31C: D3CD0074 0DD2A914
	v_mfma_f32_16x16x16_f16 v[116:119], a[22:23], v[86:87], v[116:119]// 00000000E324: D3CD0074 0DD2AD16
	v_mfma_f32_16x16x16_f16 v[116:119], a[24:25], v[88:89], v[116:119]// 00000000E32C: D3CD0074 0DD2B118
	v_mfma_f32_16x16x16_f16 v[116:119], a[26:27], v[90:91], v[116:119]// 00000000E334: D3CD0074 0DD2B51A
	v_mfma_f32_16x16x16_f16 v[116:119], a[28:29], v[92:93], v[116:119]// 00000000E33C: D3CD0074 0DD2B91C
	v_mfma_f32_16x16x16_f16 v[116:119], a[30:31], v[94:95], v[116:119]// 00000000E344: D3CD0074 0DD2BD1E
	v_mfma_f32_16x16x16_f16 v[120:123], a[32:33], v[80:81], 0  // 00000000E34C: D3CD0078 0A02A120
	v_mfma_f32_16x16x16_f16 v[120:123], a[34:35], v[82:83], v[120:123]// 00000000E354: D3CD0078 0DE2A522
	v_mfma_f32_16x16x16_f16 v[120:123], a[36:37], v[84:85], v[120:123]// 00000000E35C: D3CD0078 0DE2A924
	v_mfma_f32_16x16x16_f16 v[120:123], a[38:39], v[86:87], v[120:123]// 00000000E364: D3CD0078 0DE2AD26
	v_mfma_f32_16x16x16_f16 v[120:123], a[40:41], v[88:89], v[120:123]// 00000000E36C: D3CD0078 0DE2B128
	v_mfma_f32_16x16x16_f16 v[120:123], a[42:43], v[90:91], v[120:123]// 00000000E374: D3CD0078 0DE2B52A
	v_mfma_f32_16x16x16_f16 v[120:123], a[44:45], v[92:93], v[120:123]// 00000000E37C: D3CD0078 0DE2B92C
	v_mfma_f32_16x16x16_f16 v[120:123], a[46:47], v[94:95], v[120:123]// 00000000E384: D3CD0078 0DE2BD2E
	v_mfma_f32_16x16x16_f16 v[124:127], a[48:49], v[80:81], 0  // 00000000E38C: D3CD007C 0A02A130
	v_mfma_f32_16x16x16_f16 v[124:127], a[50:51], v[82:83], v[124:127]// 00000000E394: D3CD007C 0DF2A532
	v_mfma_f32_16x16x16_f16 v[124:127], a[52:53], v[84:85], v[124:127]// 00000000E39C: D3CD007C 0DF2A934
	v_mfma_f32_16x16x16_f16 v[124:127], a[54:55], v[86:87], v[124:127]// 00000000E3A4: D3CD007C 0DF2AD36
	v_mfma_f32_16x16x16_f16 v[124:127], a[56:57], v[88:89], v[124:127]// 00000000E3AC: D3CD007C 0DF2B138
	v_mfma_f32_16x16x16_f16 v[124:127], a[58:59], v[90:91], v[124:127]// 00000000E3B4: D3CD007C 0DF2B53A
	v_mfma_f32_16x16x16_f16 v[124:127], a[60:61], v[92:93], v[124:127]// 00000000E3BC: D3CD007C 0DF2B93C
	v_mfma_f32_16x16x16_f16 v[124:127], a[62:63], v[94:95], v[124:127]// 00000000E3C4: D3CD007C 0DF2BD3E
	v_mfma_f32_16x16x16_f16 v[144:147], a[0:1], v[96:97], 0    // 00000000E3CC: D3CD0090 0A02C100
	v_mfma_f32_16x16x16_f16 v[144:147], a[2:3], v[98:99], v[144:147]// 00000000E3D4: D3CD0090 0E42C502
	v_mfma_f32_16x16x16_f16 v[144:147], a[4:5], v[100:101], v[144:147]// 00000000E3DC: D3CD0090 0E42C904
	v_mfma_f32_16x16x16_f16 v[144:147], a[6:7], v[102:103], v[144:147]// 00000000E3E4: D3CD0090 0E42CD06
	v_mfma_f32_16x16x16_f16 v[144:147], a[8:9], v[104:105], v[144:147]// 00000000E3EC: D3CD0090 0E42D108
	v_mfma_f32_16x16x16_f16 v[144:147], a[10:11], v[106:107], v[144:147]// 00000000E3F4: D3CD0090 0E42D50A
	v_mfma_f32_16x16x16_f16 v[144:147], a[12:13], v[108:109], v[144:147]// 00000000E3FC: D3CD0090 0E42D90C
	v_mfma_f32_16x16x16_f16 v[144:147], a[14:15], v[110:111], v[144:147]// 00000000E404: D3CD0090 0E42DD0E
	v_mfma_f32_16x16x16_f16 v[148:151], a[16:17], v[96:97], 0  // 00000000E40C: D3CD0094 0A02C110
	v_mfma_f32_16x16x16_f16 v[148:151], a[18:19], v[98:99], v[148:151]// 00000000E414: D3CD0094 0E52C512
	v_mfma_f32_16x16x16_f16 v[148:151], a[20:21], v[100:101], v[148:151]// 00000000E41C: D3CD0094 0E52C914
	v_mfma_f32_16x16x16_f16 v[148:151], a[22:23], v[102:103], v[148:151]// 00000000E424: D3CD0094 0E52CD16
	v_mfma_f32_16x16x16_f16 v[148:151], a[24:25], v[104:105], v[148:151]// 00000000E42C: D3CD0094 0E52D118
	v_mfma_f32_16x16x16_f16 v[148:151], a[26:27], v[106:107], v[148:151]// 00000000E434: D3CD0094 0E52D51A
	v_mfma_f32_16x16x16_f16 v[148:151], a[28:29], v[108:109], v[148:151]// 00000000E43C: D3CD0094 0E52D91C
	v_mfma_f32_16x16x16_f16 v[148:151], a[30:31], v[110:111], v[148:151]// 00000000E444: D3CD0094 0E52DD1E
	v_mfma_f32_16x16x16_f16 v[152:155], a[32:33], v[96:97], 0  // 00000000E44C: D3CD0098 0A02C120
	v_mfma_f32_16x16x16_f16 v[152:155], a[34:35], v[98:99], v[152:155]// 00000000E454: D3CD0098 0E62C522
	v_mfma_f32_16x16x16_f16 v[152:155], a[36:37], v[100:101], v[152:155]// 00000000E45C: D3CD0098 0E62C924
	v_mfma_f32_16x16x16_f16 v[152:155], a[38:39], v[102:103], v[152:155]// 00000000E464: D3CD0098 0E62CD26
	v_mfma_f32_16x16x16_f16 v[152:155], a[40:41], v[104:105], v[152:155]// 00000000E46C: D3CD0098 0E62D128
	v_mfma_f32_16x16x16_f16 v[152:155], a[42:43], v[106:107], v[152:155]// 00000000E474: D3CD0098 0E62D52A
	v_mfma_f32_16x16x16_f16 v[152:155], a[44:45], v[108:109], v[152:155]// 00000000E47C: D3CD0098 0E62D92C
	v_mfma_f32_16x16x16_f16 v[152:155], a[46:47], v[110:111], v[152:155]// 00000000E484: D3CD0098 0E62DD2E
	v_mfma_f32_16x16x16_f16 v[156:159], a[48:49], v[96:97], 0  // 00000000E48C: D3CD009C 0A02C130
	v_mfma_f32_16x16x16_f16 v[156:159], a[50:51], v[98:99], v[156:159]// 00000000E494: D3CD009C 0E72C532
	v_mfma_f32_16x16x16_f16 v[156:159], a[52:53], v[100:101], v[156:159]// 00000000E49C: D3CD009C 0E72C934
	v_mfma_f32_16x16x16_f16 v[156:159], a[54:55], v[102:103], v[156:159]// 00000000E4A4: D3CD009C 0E72CD36
	v_mfma_f32_16x16x16_f16 v[156:159], a[56:57], v[104:105], v[156:159]// 00000000E4AC: D3CD009C 0E72D138
	v_mfma_f32_16x16x16_f16 v[156:159], a[58:59], v[106:107], v[156:159]// 00000000E4B4: D3CD009C 0E72D53A
	v_mfma_f32_16x16x16_f16 v[156:159], a[60:61], v[108:109], v[156:159]// 00000000E4BC: D3CD009C 0E72D93C
	v_mfma_f32_16x16x16_f16 v[156:159], a[62:63], v[110:111], v[156:159]// 00000000E4C4: D3CD009C 0E72DD3E
	s_cmp_le_i32 s90, s89                                      // 00000000E4CC: BF05595A
	s_cbranch_scc1 label_3129                                  // 00000000E4D0: BF850073
	v_mov_b32_e32 v55, 0xff800000                              // 00000000E4D4: 7E6E02FF FF800000
	s_mov_b32 s60, s90                                         // 00000000E4DC: BEBC005A
	s_add_u32 s61, s89, 0xff                                   // 00000000E4E0: 803DFF59 000000FF
	v_mov_b32_e32 v39, s61                                     // 00000000E4E8: 7E4E023D
	v_lshrrev_b32_e32 v31, 4, v0                               // 00000000E4EC: 203E0084
	v_mul_i32_i24_e32 v31, 4, v31                              // 00000000E4F0: 0C3E3E84
	v_add_u32_e32 v31, s60, v31                                // 00000000E4F4: 683E3E3C
	v_and_b32_e32 v40, 15, v0                                  // 00000000E4F8: 2650008F
	v_lshrrev_b32_e32 v40, 3, v40                              // 00000000E4FC: 20505083
	s_mov_b32 s61, 0                                           // 00000000E500: BEBD0080
	s_mul_i32 s60, 16, s7                                      // 00000000E504: 923C0790
	v_add_u32_e32 v40, s61, v40                                // 00000000E508: 6850503D
	v_sub_u32_e32 v31, v31, v40                                // 00000000E50C: 6A3E511F
	v_add_u32_e32 v31, s60, v31                                // 00000000E510: 683E3E3C
	v_add_u32_e32 v32, 1, v31                                  // 00000000E514: 68403E81
	v_add_u32_e32 v33, 2, v31                                  // 00000000E518: 68423E82
	v_add_u32_e32 v34, 3, v31                                  // 00000000E51C: 68443E83
	v_cmp_le_u32_e64 s[40:41], v31, v39                        // 00000000E520: D0CB0028 00024F1F
	v_add_u32_e32 v31, 64, v31                                 // 00000000E528: 683E3EC0
	s_nop 0                                                    // 00000000E52C: BF800000
	v_cndmask_b32_e64 v112, v55, v112, s[40:41]                // 00000000E530: D1000070 00A2E137
	v_cmp_le_u32_e64 s[40:41], v32, v39                        // 00000000E538: D0CB0028 00024F20
	v_add_u32_e32 v32, 64, v32                                 // 00000000E540: 684040C0
	s_nop 0                                                    // 00000000E544: BF800000
	v_cndmask_b32_e64 v113, v55, v113, s[40:41]                // 00000000E548: D1000071 00A2E337
	v_cmp_le_u32_e64 s[40:41], v33, v39                        // 00000000E550: D0CB0028 00024F21
	v_add_u32_e32 v33, 64, v33                                 // 00000000E558: 684242C0
	s_nop 0                                                    // 00000000E55C: BF800000
	v_cndmask_b32_e64 v114, v55, v114, s[40:41]                // 00000000E560: D1000072 00A2E537
	v_cmp_le_u32_e64 s[40:41], v34, v39                        // 00000000E568: D0CB0028 00024F22
	v_add_u32_e32 v34, 64, v34                                 // 00000000E570: 684444C0
	s_nop 0                                                    // 00000000E574: BF800000
	v_cndmask_b32_e64 v115, v55, v115, s[40:41]                // 00000000E578: D1000073 00A2E737
	v_cmp_le_u32_e64 s[40:41], v31, v39                        // 00000000E580: D0CB0028 00024F1F
	v_add_u32_e32 v31, 64, v31                                 // 00000000E588: 683E3EC0
	s_nop 0                                                    // 00000000E58C: BF800000
	v_cndmask_b32_e64 v116, v55, v116, s[40:41]                // 00000000E590: D1000074 00A2E937
	v_cmp_le_u32_e64 s[40:41], v32, v39                        // 00000000E598: D0CB0028 00024F20
	v_add_u32_e32 v32, 64, v32                                 // 00000000E5A0: 684040C0
	s_nop 0                                                    // 00000000E5A4: BF800000
	v_cndmask_b32_e64 v117, v55, v117, s[40:41]                // 00000000E5A8: D1000075 00A2EB37
	v_cmp_le_u32_e64 s[40:41], v33, v39                        // 00000000E5B0: D0CB0028 00024F21
	v_add_u32_e32 v33, 64, v33                                 // 00000000E5B8: 684242C0
	s_nop 0                                                    // 00000000E5BC: BF800000
	v_cndmask_b32_e64 v118, v55, v118, s[40:41]                // 00000000E5C0: D1000076 00A2ED37
	v_cmp_le_u32_e64 s[40:41], v34, v39                        // 00000000E5C8: D0CB0028 00024F22
	v_add_u32_e32 v34, 64, v34                                 // 00000000E5D0: 684444C0
	s_nop 0                                                    // 00000000E5D4: BF800000
	v_cndmask_b32_e64 v119, v55, v119, s[40:41]                // 00000000E5D8: D1000077 00A2EF37
	v_cmp_le_u32_e64 s[40:41], v31, v39                        // 00000000E5E0: D0CB0028 00024F1F
	v_add_u32_e32 v31, 64, v31                                 // 00000000E5E8: 683E3EC0
	s_nop 0                                                    // 00000000E5EC: BF800000
	v_cndmask_b32_e64 v120, v55, v120, s[40:41]                // 00000000E5F0: D1000078 00A2F137
	v_cmp_le_u32_e64 s[40:41], v32, v39                        // 00000000E5F8: D0CB0028 00024F20
	v_add_u32_e32 v32, 64, v32                                 // 00000000E600: 684040C0
	s_nop 0                                                    // 00000000E604: BF800000
	v_cndmask_b32_e64 v121, v55, v121, s[40:41]                // 00000000E608: D1000079 00A2F337
	v_cmp_le_u32_e64 s[40:41], v33, v39                        // 00000000E610: D0CB0028 00024F21
	v_add_u32_e32 v33, 64, v33                                 // 00000000E618: 684242C0
	s_nop 0                                                    // 00000000E61C: BF800000
	v_cndmask_b32_e64 v122, v55, v122, s[40:41]                // 00000000E620: D100007A 00A2F537
	v_cmp_le_u32_e64 s[40:41], v34, v39                        // 00000000E628: D0CB0028 00024F22
	v_add_u32_e32 v34, 64, v34                                 // 00000000E630: 684444C0
	s_nop 0                                                    // 00000000E634: BF800000
	v_cndmask_b32_e64 v123, v55, v123, s[40:41]                // 00000000E638: D100007B 00A2F737
	v_cmp_le_u32_e64 s[40:41], v31, v39                        // 00000000E640: D0CB0028 00024F1F
	v_add_u32_e32 v31, 64, v31                                 // 00000000E648: 683E3EC0
	s_nop 0                                                    // 00000000E64C: BF800000
	v_cndmask_b32_e64 v124, v55, v124, s[40:41]                // 00000000E650: D100007C 00A2F937
	v_cmp_le_u32_e64 s[40:41], v32, v39                        // 00000000E658: D0CB0028 00024F20
	v_add_u32_e32 v32, 64, v32                                 // 00000000E660: 684040C0
	s_nop 0                                                    // 00000000E664: BF800000
	v_cndmask_b32_e64 v125, v55, v125, s[40:41]                // 00000000E668: D100007D 00A2FB37
	v_cmp_le_u32_e64 s[40:41], v33, v39                        // 00000000E670: D0CB0028 00024F21
	v_add_u32_e32 v33, 64, v33                                 // 00000000E678: 684242C0
	s_nop 0                                                    // 00000000E67C: BF800000
	v_cndmask_b32_e64 v126, v55, v126, s[40:41]                // 00000000E680: D100007E 00A2FD37
	v_cmp_le_u32_e64 s[40:41], v34, v39                        // 00000000E688: D0CB0028 00024F22
	v_add_u32_e32 v34, 64, v34                                 // 00000000E690: 684444C0
	s_nop 0                                                    // 00000000E694: BF800000
	v_cndmask_b32_e64 v127, v55, v127, s[40:41]                // 00000000E698: D100007F 00A2FF37

000000000000e6a0 <label_3129>:
	s_cmp_le_i32 s90, s89                                      // 00000000E6A0: BF05595A
	s_cbranch_scc1 label_319E                                  // 00000000E6A4: BF850073
	v_mov_b32_e32 v55, 0xff800000                              // 00000000E6A8: 7E6E02FF FF800000
	s_mov_b32 s60, s90                                         // 00000000E6B0: BEBC005A
	s_add_u32 s61, s89, 0xff                                   // 00000000E6B4: 803DFF59 000000FF
	v_mov_b32_e32 v39, s61                                     // 00000000E6BC: 7E4E023D
	v_lshrrev_b32_e32 v31, 4, v0                               // 00000000E6C0: 203E0084
	v_mul_i32_i24_e32 v31, 4, v31                              // 00000000E6C4: 0C3E3E84
	v_add_u32_e32 v31, s60, v31                                // 00000000E6C8: 683E3E3C
	v_and_b32_e32 v40, 15, v0                                  // 00000000E6CC: 2650008F
	v_lshrrev_b32_e32 v40, 3, v40                              // 00000000E6D0: 20505083
	s_mov_b32 s61, 2                                           // 00000000E6D4: BEBD0082
	s_mul_i32 s60, 16, s7                                      // 00000000E6D8: 923C0790
	v_add_u32_e32 v40, s61, v40                                // 00000000E6DC: 6850503D
	v_sub_u32_e32 v31, v31, v40                                // 00000000E6E0: 6A3E511F
	v_add_u32_e32 v31, s60, v31                                // 00000000E6E4: 683E3E3C
	v_add_u32_e32 v32, 1, v31                                  // 00000000E6E8: 68403E81
	v_add_u32_e32 v33, 2, v31                                  // 00000000E6EC: 68423E82
	v_add_u32_e32 v34, 3, v31                                  // 00000000E6F0: 68443E83
	v_cmp_le_u32_e64 s[40:41], v31, v39                        // 00000000E6F4: D0CB0028 00024F1F
	v_add_u32_e32 v31, 64, v31                                 // 00000000E6FC: 683E3EC0
	s_nop 0                                                    // 00000000E700: BF800000
	v_cndmask_b32_e64 v144, v55, v144, s[40:41]                // 00000000E704: D1000090 00A32137
	v_cmp_le_u32_e64 s[40:41], v32, v39                        // 00000000E70C: D0CB0028 00024F20
	v_add_u32_e32 v32, 64, v32                                 // 00000000E714: 684040C0
	s_nop 0                                                    // 00000000E718: BF800000
	v_cndmask_b32_e64 v145, v55, v145, s[40:41]                // 00000000E71C: D1000091 00A32337
	v_cmp_le_u32_e64 s[40:41], v33, v39                        // 00000000E724: D0CB0028 00024F21
	v_add_u32_e32 v33, 64, v33                                 // 00000000E72C: 684242C0
	s_nop 0                                                    // 00000000E730: BF800000
	v_cndmask_b32_e64 v146, v55, v146, s[40:41]                // 00000000E734: D1000092 00A32537
	v_cmp_le_u32_e64 s[40:41], v34, v39                        // 00000000E73C: D0CB0028 00024F22
	v_add_u32_e32 v34, 64, v34                                 // 00000000E744: 684444C0
	s_nop 0                                                    // 00000000E748: BF800000
	v_cndmask_b32_e64 v147, v55, v147, s[40:41]                // 00000000E74C: D1000093 00A32737
	v_cmp_le_u32_e64 s[40:41], v31, v39                        // 00000000E754: D0CB0028 00024F1F
	v_add_u32_e32 v31, 64, v31                                 // 00000000E75C: 683E3EC0
	s_nop 0                                                    // 00000000E760: BF800000
	v_cndmask_b32_e64 v148, v55, v148, s[40:41]                // 00000000E764: D1000094 00A32937
	v_cmp_le_u32_e64 s[40:41], v32, v39                        // 00000000E76C: D0CB0028 00024F20
	v_add_u32_e32 v32, 64, v32                                 // 00000000E774: 684040C0
	s_nop 0                                                    // 00000000E778: BF800000
	v_cndmask_b32_e64 v149, v55, v149, s[40:41]                // 00000000E77C: D1000095 00A32B37
	v_cmp_le_u32_e64 s[40:41], v33, v39                        // 00000000E784: D0CB0028 00024F21
	v_add_u32_e32 v33, 64, v33                                 // 00000000E78C: 684242C0
	s_nop 0                                                    // 00000000E790: BF800000
	v_cndmask_b32_e64 v150, v55, v150, s[40:41]                // 00000000E794: D1000096 00A32D37
	v_cmp_le_u32_e64 s[40:41], v34, v39                        // 00000000E79C: D0CB0028 00024F22
	v_add_u32_e32 v34, 64, v34                                 // 00000000E7A4: 684444C0
	s_nop 0                                                    // 00000000E7A8: BF800000
	v_cndmask_b32_e64 v151, v55, v151, s[40:41]                // 00000000E7AC: D1000097 00A32F37
	v_cmp_le_u32_e64 s[40:41], v31, v39                        // 00000000E7B4: D0CB0028 00024F1F
	v_add_u32_e32 v31, 64, v31                                 // 00000000E7BC: 683E3EC0
	s_nop 0                                                    // 00000000E7C0: BF800000
	v_cndmask_b32_e64 v152, v55, v152, s[40:41]                // 00000000E7C4: D1000098 00A33137
	v_cmp_le_u32_e64 s[40:41], v32, v39                        // 00000000E7CC: D0CB0028 00024F20
	v_add_u32_e32 v32, 64, v32                                 // 00000000E7D4: 684040C0
	s_nop 0                                                    // 00000000E7D8: BF800000
	v_cndmask_b32_e64 v153, v55, v153, s[40:41]                // 00000000E7DC: D1000099 00A33337
	v_cmp_le_u32_e64 s[40:41], v33, v39                        // 00000000E7E4: D0CB0028 00024F21
	v_add_u32_e32 v33, 64, v33                                 // 00000000E7EC: 684242C0
	s_nop 0                                                    // 00000000E7F0: BF800000
	v_cndmask_b32_e64 v154, v55, v154, s[40:41]                // 00000000E7F4: D100009A 00A33537
	v_cmp_le_u32_e64 s[40:41], v34, v39                        // 00000000E7FC: D0CB0028 00024F22
	v_add_u32_e32 v34, 64, v34                                 // 00000000E804: 684444C0
	s_nop 0                                                    // 00000000E808: BF800000
	v_cndmask_b32_e64 v155, v55, v155, s[40:41]                // 00000000E80C: D100009B 00A33737
	v_cmp_le_u32_e64 s[40:41], v31, v39                        // 00000000E814: D0CB0028 00024F1F
	v_add_u32_e32 v31, 64, v31                                 // 00000000E81C: 683E3EC0
	s_nop 0                                                    // 00000000E820: BF800000
	v_cndmask_b32_e64 v156, v55, v156, s[40:41]                // 00000000E824: D100009C 00A33937
	v_cmp_le_u32_e64 s[40:41], v32, v39                        // 00000000E82C: D0CB0028 00024F20
	v_add_u32_e32 v32, 64, v32                                 // 00000000E834: 684040C0
	s_nop 0                                                    // 00000000E838: BF800000
	v_cndmask_b32_e64 v157, v55, v157, s[40:41]                // 00000000E83C: D100009D 00A33B37
	v_cmp_le_u32_e64 s[40:41], v33, v39                        // 00000000E844: D0CB0028 00024F21
	v_add_u32_e32 v33, 64, v33                                 // 00000000E84C: 684242C0
	s_nop 0                                                    // 00000000E850: BF800000
	v_cndmask_b32_e64 v158, v55, v158, s[40:41]                // 00000000E854: D100009E 00A33D37
	v_cmp_le_u32_e64 s[40:41], v34, v39                        // 00000000E85C: D0CB0028 00024F22
	v_add_u32_e32 v34, 64, v34                                 // 00000000E864: 684444C0
	s_nop 0                                                    // 00000000E868: BF800000
	v_cndmask_b32_e64 v159, v55, v159, s[40:41]                // 00000000E86C: D100009F 00A33F37

000000000000e874 <label_319E>:
	s_nop 8                                                    // 00000000E874: BF800008
	s_and_b32 s60, s72, 0xff                                   // 00000000E878: 863CFF48 000000FF
	v_mov_b32_e32 v56, s60                                     // 00000000E880: 7E70023C
	v_lshrrev_b32_e32 v31, 4, v0                               // 00000000E884: 203E0084
	v_mul_i32_i24_e32 v31, 4, v31                              // 00000000E888: 0C3E3E84
	s_mul_i32 s60, s7, 16                                      // 00000000E88C: 923C9007
	v_add_u32_e32 v31, s60, v31                                // 00000000E890: 683E3E3C
	v_add_u32_e32 v32, 1, v31                                  // 00000000E894: 68403E81
	v_add_u32_e32 v33, 2, v31                                  // 00000000E898: 68423E82
	v_add_u32_e32 v34, 3, v31                                  // 00000000E89C: 68443E83
	v_mov_b32_e32 v39, v55                                     // 00000000E8A0: 7E4E0337
	v_cmp_lt_u32_e64 s[40:41], v31, v56                        // 00000000E8A4: D0C90028 0002711F
	v_add_u32_e32 v31, 64, v31                                 // 00000000E8AC: 683E3EC0
	s_nop 0                                                    // 00000000E8B0: BF800000
	v_cndmask_b32_e64 v112, v39, v112, s[40:41]                // 00000000E8B4: D1000070 00A2E127
	v_cmp_lt_u32_e64 s[40:41], v32, v56                        // 00000000E8BC: D0C90028 00027120
	v_add_u32_e32 v32, 64, v32                                 // 00000000E8C4: 684040C0
	s_nop 0                                                    // 00000000E8C8: BF800000
	v_cndmask_b32_e64 v113, v39, v113, s[40:41]                // 00000000E8CC: D1000071 00A2E327
	v_cmp_lt_u32_e64 s[40:41], v33, v56                        // 00000000E8D4: D0C90028 00027121
	v_add_u32_e32 v33, 64, v33                                 // 00000000E8DC: 684242C0
	s_nop 0                                                    // 00000000E8E0: BF800000
	v_cndmask_b32_e64 v114, v39, v114, s[40:41]                // 00000000E8E4: D1000072 00A2E527
	v_cmp_lt_u32_e64 s[40:41], v34, v56                        // 00000000E8EC: D0C90028 00027122
	v_add_u32_e32 v34, 64, v34                                 // 00000000E8F4: 684444C0
	s_nop 0                                                    // 00000000E8F8: BF800000
	v_cndmask_b32_e64 v115, v39, v115, s[40:41]                // 00000000E8FC: D1000073 00A2E727
	v_cmp_lt_u32_e64 s[40:41], v31, v56                        // 00000000E904: D0C90028 0002711F
	v_add_u32_e32 v31, 64, v31                                 // 00000000E90C: 683E3EC0
	s_nop 0                                                    // 00000000E910: BF800000
	v_cndmask_b32_e64 v116, v39, v116, s[40:41]                // 00000000E914: D1000074 00A2E927
	v_cmp_lt_u32_e64 s[40:41], v32, v56                        // 00000000E91C: D0C90028 00027120
	v_add_u32_e32 v32, 64, v32                                 // 00000000E924: 684040C0
	s_nop 0                                                    // 00000000E928: BF800000
	v_cndmask_b32_e64 v117, v39, v117, s[40:41]                // 00000000E92C: D1000075 00A2EB27
	v_cmp_lt_u32_e64 s[40:41], v33, v56                        // 00000000E934: D0C90028 00027121
	v_add_u32_e32 v33, 64, v33                                 // 00000000E93C: 684242C0
	s_nop 0                                                    // 00000000E940: BF800000
	v_cndmask_b32_e64 v118, v39, v118, s[40:41]                // 00000000E944: D1000076 00A2ED27
	v_cmp_lt_u32_e64 s[40:41], v34, v56                        // 00000000E94C: D0C90028 00027122
	v_add_u32_e32 v34, 64, v34                                 // 00000000E954: 684444C0
	s_nop 0                                                    // 00000000E958: BF800000
	v_cndmask_b32_e64 v119, v39, v119, s[40:41]                // 00000000E95C: D1000077 00A2EF27
	v_cmp_lt_u32_e64 s[40:41], v31, v56                        // 00000000E964: D0C90028 0002711F
	v_add_u32_e32 v31, 64, v31                                 // 00000000E96C: 683E3EC0
	s_nop 0                                                    // 00000000E970: BF800000
	v_cndmask_b32_e64 v120, v39, v120, s[40:41]                // 00000000E974: D1000078 00A2F127
	v_cmp_lt_u32_e64 s[40:41], v32, v56                        // 00000000E97C: D0C90028 00027120
	v_add_u32_e32 v32, 64, v32                                 // 00000000E984: 684040C0
	s_nop 0                                                    // 00000000E988: BF800000
	v_cndmask_b32_e64 v121, v39, v121, s[40:41]                // 00000000E98C: D1000079 00A2F327
	v_cmp_lt_u32_e64 s[40:41], v33, v56                        // 00000000E994: D0C90028 00027121
	v_add_u32_e32 v33, 64, v33                                 // 00000000E99C: 684242C0
	s_nop 0                                                    // 00000000E9A0: BF800000
	v_cndmask_b32_e64 v122, v39, v122, s[40:41]                // 00000000E9A4: D100007A 00A2F527
	v_cmp_lt_u32_e64 s[40:41], v34, v56                        // 00000000E9AC: D0C90028 00027122
	v_add_u32_e32 v34, 64, v34                                 // 00000000E9B4: 684444C0
	s_nop 0                                                    // 00000000E9B8: BF800000
	v_cndmask_b32_e64 v123, v39, v123, s[40:41]                // 00000000E9BC: D100007B 00A2F727
	v_cmp_lt_u32_e64 s[40:41], v31, v56                        // 00000000E9C4: D0C90028 0002711F
	v_add_u32_e32 v31, 64, v31                                 // 00000000E9CC: 683E3EC0
	s_nop 0                                                    // 00000000E9D0: BF800000
	v_cndmask_b32_e64 v124, v39, v124, s[40:41]                // 00000000E9D4: D100007C 00A2F927
	v_cmp_lt_u32_e64 s[40:41], v32, v56                        // 00000000E9DC: D0C90028 00027120
	v_add_u32_e32 v32, 64, v32                                 // 00000000E9E4: 684040C0
	s_nop 0                                                    // 00000000E9E8: BF800000
	v_cndmask_b32_e64 v125, v39, v125, s[40:41]                // 00000000E9EC: D100007D 00A2FB27
	v_cmp_lt_u32_e64 s[40:41], v33, v56                        // 00000000E9F4: D0C90028 00027121
	v_add_u32_e32 v33, 64, v33                                 // 00000000E9FC: 684242C0
	s_nop 0                                                    // 00000000EA00: BF800000
	v_cndmask_b32_e64 v126, v39, v126, s[40:41]                // 00000000EA04: D100007E 00A2FD27
	v_cmp_lt_u32_e64 s[40:41], v34, v56                        // 00000000EA0C: D0C90028 00027122
	v_add_u32_e32 v34, 64, v34                                 // 00000000EA14: 684444C0
	s_nop 0                                                    // 00000000EA18: BF800000
	v_cndmask_b32_e64 v127, v39, v127, s[40:41]                // 00000000EA1C: D100007F 00A2FF27
	s_and_b32 s60, s72, 0xff                                   // 00000000EA24: 863CFF48 000000FF
	v_mov_b32_e32 v56, s60                                     // 00000000EA2C: 7E70023C
	v_lshrrev_b32_e32 v31, 4, v0                               // 00000000EA30: 203E0084
	v_mul_i32_i24_e32 v31, 4, v31                              // 00000000EA34: 0C3E3E84
	s_mul_i32 s60, s7, 16                                      // 00000000EA38: 923C9007
	v_add_u32_e32 v31, s60, v31                                // 00000000EA3C: 683E3E3C
	v_add_u32_e32 v32, 1, v31                                  // 00000000EA40: 68403E81
	v_add_u32_e32 v33, 2, v31                                  // 00000000EA44: 68423E82
	v_add_u32_e32 v34, 3, v31                                  // 00000000EA48: 68443E83
	v_mov_b32_e32 v39, v55                                     // 00000000EA4C: 7E4E0337
	v_cmp_lt_u32_e64 s[40:41], v31, v56                        // 00000000EA50: D0C90028 0002711F
	v_add_u32_e32 v31, 64, v31                                 // 00000000EA58: 683E3EC0
	s_nop 0                                                    // 00000000EA5C: BF800000
	v_cndmask_b32_e64 v144, v39, v144, s[40:41]                // 00000000EA60: D1000090 00A32127
	v_cmp_lt_u32_e64 s[40:41], v32, v56                        // 00000000EA68: D0C90028 00027120
	v_add_u32_e32 v32, 64, v32                                 // 00000000EA70: 684040C0
	s_nop 0                                                    // 00000000EA74: BF800000
	v_cndmask_b32_e64 v145, v39, v145, s[40:41]                // 00000000EA78: D1000091 00A32327
	v_cmp_lt_u32_e64 s[40:41], v33, v56                        // 00000000EA80: D0C90028 00027121
	v_add_u32_e32 v33, 64, v33                                 // 00000000EA88: 684242C0
	s_nop 0                                                    // 00000000EA8C: BF800000
	v_cndmask_b32_e64 v146, v39, v146, s[40:41]                // 00000000EA90: D1000092 00A32527
	v_cmp_lt_u32_e64 s[40:41], v34, v56                        // 00000000EA98: D0C90028 00027122
	v_add_u32_e32 v34, 64, v34                                 // 00000000EAA0: 684444C0
	s_nop 0                                                    // 00000000EAA4: BF800000
	v_cndmask_b32_e64 v147, v39, v147, s[40:41]                // 00000000EAA8: D1000093 00A32727
	v_cmp_lt_u32_e64 s[40:41], v31, v56                        // 00000000EAB0: D0C90028 0002711F
	v_add_u32_e32 v31, 64, v31                                 // 00000000EAB8: 683E3EC0
	s_nop 0                                                    // 00000000EABC: BF800000
	v_cndmask_b32_e64 v148, v39, v148, s[40:41]                // 00000000EAC0: D1000094 00A32927
	v_cmp_lt_u32_e64 s[40:41], v32, v56                        // 00000000EAC8: D0C90028 00027120
	v_add_u32_e32 v32, 64, v32                                 // 00000000EAD0: 684040C0
	s_nop 0                                                    // 00000000EAD4: BF800000
	v_cndmask_b32_e64 v149, v39, v149, s[40:41]                // 00000000EAD8: D1000095 00A32B27
	v_cmp_lt_u32_e64 s[40:41], v33, v56                        // 00000000EAE0: D0C90028 00027121
	v_add_u32_e32 v33, 64, v33                                 // 00000000EAE8: 684242C0
	s_nop 0                                                    // 00000000EAEC: BF800000
	v_cndmask_b32_e64 v150, v39, v150, s[40:41]                // 00000000EAF0: D1000096 00A32D27
	v_cmp_lt_u32_e64 s[40:41], v34, v56                        // 00000000EAF8: D0C90028 00027122
	v_add_u32_e32 v34, 64, v34                                 // 00000000EB00: 684444C0
	s_nop 0                                                    // 00000000EB04: BF800000
	v_cndmask_b32_e64 v151, v39, v151, s[40:41]                // 00000000EB08: D1000097 00A32F27
	v_cmp_lt_u32_e64 s[40:41], v31, v56                        // 00000000EB10: D0C90028 0002711F
	v_add_u32_e32 v31, 64, v31                                 // 00000000EB18: 683E3EC0
	s_nop 0                                                    // 00000000EB1C: BF800000
	v_cndmask_b32_e64 v152, v39, v152, s[40:41]                // 00000000EB20: D1000098 00A33127
	v_cmp_lt_u32_e64 s[40:41], v32, v56                        // 00000000EB28: D0C90028 00027120
	v_add_u32_e32 v32, 64, v32                                 // 00000000EB30: 684040C0
	s_nop 0                                                    // 00000000EB34: BF800000
	v_cndmask_b32_e64 v153, v39, v153, s[40:41]                // 00000000EB38: D1000099 00A33327
	v_cmp_lt_u32_e64 s[40:41], v33, v56                        // 00000000EB40: D0C90028 00027121
	v_add_u32_e32 v33, 64, v33                                 // 00000000EB48: 684242C0
	s_nop 0                                                    // 00000000EB4C: BF800000
	v_cndmask_b32_e64 v154, v39, v154, s[40:41]                // 00000000EB50: D100009A 00A33527
	v_cmp_lt_u32_e64 s[40:41], v34, v56                        // 00000000EB58: D0C90028 00027122
	v_add_u32_e32 v34, 64, v34                                 // 00000000EB60: 684444C0
	s_nop 0                                                    // 00000000EB64: BF800000
	v_cndmask_b32_e64 v155, v39, v155, s[40:41]                // 00000000EB68: D100009B 00A33727
	v_cmp_lt_u32_e64 s[40:41], v31, v56                        // 00000000EB70: D0C90028 0002711F
	v_add_u32_e32 v31, 64, v31                                 // 00000000EB78: 683E3EC0
	s_nop 0                                                    // 00000000EB7C: BF800000
	v_cndmask_b32_e64 v156, v39, v156, s[40:41]                // 00000000EB80: D100009C 00A33927
	v_cmp_lt_u32_e64 s[40:41], v32, v56                        // 00000000EB88: D0C90028 00027120
	v_add_u32_e32 v32, 64, v32                                 // 00000000EB90: 684040C0
	s_nop 0                                                    // 00000000EB94: BF800000
	v_cndmask_b32_e64 v157, v39, v157, s[40:41]                // 00000000EB98: D100009D 00A33B27
	v_cmp_lt_u32_e64 s[40:41], v33, v56                        // 00000000EBA0: D0C90028 00027121
	v_add_u32_e32 v33, 64, v33                                 // 00000000EBA8: 684242C0
	s_nop 0                                                    // 00000000EBAC: BF800000
	v_cndmask_b32_e64 v158, v39, v158, s[40:41]                // 00000000EBB0: D100009E 00A33D27
	v_cmp_lt_u32_e64 s[40:41], v34, v56                        // 00000000EBB8: D0C90028 00027122
	v_add_u32_e32 v34, 64, v34                                 // 00000000EBC0: 684444C0
	s_nop 0                                                    // 00000000EBC4: BF800000
	v_cndmask_b32_e64 v159, v39, v159, s[40:41]                // 00000000EBC8: D100009F 00A33F27
	s_nop 8                                                    // 00000000EBD0: BF800008
	v_mov_b32_e32 v50, v112                                    // 00000000EBD4: 7E640370
	v_max3_f32 v50, v112, v113, v50                            // 00000000EBD8: D1D30032 04CAE370
	v_max3_f32 v50, v114, v115, v50                            // 00000000EBE0: D1D30032 04CAE772
	v_max3_f32 v50, v116, v117, v50                            // 00000000EBE8: D1D30032 04CAEB74
	v_max3_f32 v50, v118, v119, v50                            // 00000000EBF0: D1D30032 04CAEF76
	v_max3_f32 v50, v120, v121, v50                            // 00000000EBF8: D1D30032 04CAF378
	v_max3_f32 v50, v122, v123, v50                            // 00000000EC00: D1D30032 04CAF77A
	v_max3_f32 v50, v124, v125, v50                            // 00000000EC08: D1D30032 04CAFB7C
	v_max3_f32 v50, v126, v127, v50                            // 00000000EC10: D1D30032 04CAFF7E
	ds_write_b32 v11, v50                                      // 00000000EC18: D81A0000 0000320B
	s_waitcnt lgkmcnt(0)                                       // 00000000EC20: BF8CC07F
	s_barrier                                                  // 00000000EC24: BF8A0000
	ds_read_b32 v64, v10                                       // 00000000EC28: D86C0000 4000000A
	ds_read_b32 v65, v10 offset:64                             // 00000000EC30: D86C0040 4100000A
	ds_read_b32 v66, v10 offset:128                            // 00000000EC38: D86C0080 4200000A
	ds_read_b32 v67, v10 offset:192                            // 00000000EC40: D86C00C0 4300000A
	ds_read_b32 v68, v10 offset:256                            // 00000000EC48: D86C0100 4400000A
	ds_read_b32 v69, v10 offset:320                            // 00000000EC50: D86C0140 4500000A
	ds_read_b32 v70, v10 offset:384                            // 00000000EC58: D86C0180 4600000A
	ds_read_b32 v71, v10 offset:448                            // 00000000EC60: D86C01C0 4700000A
	ds_read_b32 v72, v10 offset:512                            // 00000000EC68: D86C0200 4800000A
	ds_read_b32 v73, v10 offset:576                            // 00000000EC70: D86C0240 4900000A
	ds_read_b32 v74, v10 offset:640                            // 00000000EC78: D86C0280 4A00000A
	ds_read_b32 v75, v10 offset:704                            // 00000000EC80: D86C02C0 4B00000A
	ds_read_b32 v76, v10 offset:768                            // 00000000EC88: D86C0300 4C00000A
	ds_read_b32 v77, v10 offset:832                            // 00000000EC90: D86C0340 4D00000A
	ds_read_b32 v78, v10 offset:896                            // 00000000EC98: D86C0380 4E00000A
	ds_read_b32 v79, v10 offset:960                            // 00000000ECA0: D86C03C0 4F00000A
	s_waitcnt lgkmcnt(0)                                       // 00000000ECA8: BF8CC07F
	v_max3_f32 v50, v64, v65, v50                              // 00000000ECAC: D1D30032 04CA8340
	v_max3_f32 v50, v66, v67, v50                              // 00000000ECB4: D1D30032 04CA8742
	v_max3_f32 v50, v68, v69, v50                              // 00000000ECBC: D1D30032 04CA8B44
	v_max3_f32 v50, v70, v71, v50                              // 00000000ECC4: D1D30032 04CA8F46
	v_max3_f32 v50, v72, v73, v50                              // 00000000ECCC: D1D30032 04CA9348
	v_max3_f32 v50, v74, v75, v50                              // 00000000ECD4: D1D30032 04CA974A
	v_max3_f32 v50, v76, v77, v50                              // 00000000ECDC: D1D30032 04CA9B4C
	v_max3_f32 v50, v78, v79, v50                              // 00000000ECE4: D1D30032 04CA9F4E
	v_cmp_eq_u32_e64 s[40:41], v55, v14                        // 00000000ECEC: D0CA0028 00021D37
	s_nop 1                                                    // 00000000ECF4: BF800001
	v_max_f32_e32 v16, v50, v14                                // 00000000ECF8: 16201D32
	v_sub_f32_e32 v51, v14, v16                                // 00000000ECFC: 0466210E
	v_cndmask_b32_e64 v51, v51, 0, s[40:41]                    // 00000000ED00: D1000033 00A10133
	v_mov_b32_e32 v14, v16                                     // 00000000ED08: 7E1C0310
	v_mul_f32_e32 v53, s64, v16                                // 00000000ED0C: 0A6A2040
	v_mul_f32_e32 v51, s64, v51                                // 00000000ED10: 0A666640
	v_exp_f32_e32 v51, v51                                     // 00000000ED14: 7E664133
	v_fma_f32 v112, v112, s64, -v53                            // 00000000ED18: D1CB0070 84D48170
	v_fma_f32 v113, v113, s64, -v53                            // 00000000ED20: D1CB0071 84D48171
	v_fma_f32 v114, v114, s64, -v53                            // 00000000ED28: D1CB0072 84D48172
	v_fma_f32 v115, v115, s64, -v53                            // 00000000ED30: D1CB0073 84D48173
	v_fma_f32 v116, v116, s64, -v53                            // 00000000ED38: D1CB0074 84D48174
	v_fma_f32 v117, v117, s64, -v53                            // 00000000ED40: D1CB0075 84D48175
	v_fma_f32 v118, v118, s64, -v53                            // 00000000ED48: D1CB0076 84D48176
	v_fma_f32 v119, v119, s64, -v53                            // 00000000ED50: D1CB0077 84D48177
	v_fma_f32 v120, v120, s64, -v53                            // 00000000ED58: D1CB0078 84D48178
	v_fma_f32 v121, v121, s64, -v53                            // 00000000ED60: D1CB0079 84D48179
	v_fma_f32 v122, v122, s64, -v53                            // 00000000ED68: D1CB007A 84D4817A
	v_fma_f32 v123, v123, s64, -v53                            // 00000000ED70: D1CB007B 84D4817B
	v_fma_f32 v124, v124, s64, -v53                            // 00000000ED78: D1CB007C 84D4817C
	v_fma_f32 v125, v125, s64, -v53                            // 00000000ED80: D1CB007D 84D4817D
	v_fma_f32 v126, v126, s64, -v53                            // 00000000ED88: D1CB007E 84D4817E
	v_fma_f32 v127, v127, s64, -v53                            // 00000000ED90: D1CB007F 84D4817F
	v_exp_f32_e32 v112, v112                                   // 00000000ED98: 7EE04170
	v_exp_f32_e32 v113, v113                                   // 00000000ED9C: 7EE24171
	v_exp_f32_e32 v114, v114                                   // 00000000EDA0: 7EE44172
	v_exp_f32_e32 v115, v115                                   // 00000000EDA4: 7EE64173
	v_exp_f32_e32 v116, v116                                   // 00000000EDA8: 7EE84174
	v_exp_f32_e32 v117, v117                                   // 00000000EDAC: 7EEA4175
	v_exp_f32_e32 v118, v118                                   // 00000000EDB0: 7EEC4176
	v_exp_f32_e32 v119, v119                                   // 00000000EDB4: 7EEE4177
	v_exp_f32_e32 v120, v120                                   // 00000000EDB8: 7EF04178
	v_exp_f32_e32 v121, v121                                   // 00000000EDBC: 7EF24179
	v_exp_f32_e32 v122, v122                                   // 00000000EDC0: 7EF4417A
	v_exp_f32_e32 v123, v123                                   // 00000000EDC4: 7EF6417B
	v_exp_f32_e32 v124, v124                                   // 00000000EDC8: 7EF8417C
	v_exp_f32_e32 v125, v125                                   // 00000000EDCC: 7EFA417D
	v_exp_f32_e32 v126, v126                                   // 00000000EDD0: 7EFC417E
	v_exp_f32_e32 v127, v127                                   // 00000000EDD4: 7EFE417F
	v_mul_f32_e32 v43, v51, v43                                // 00000000EDD8: 0A565733
	v_mov_b32_e32 v45, v112                                    // 00000000EDDC: 7E5A0370
	v_add_f32_e32 v45, v113, v45                               // 00000000EDE0: 025A5B71
	v_add_f32_e32 v45, v114, v45                               // 00000000EDE4: 025A5B72
	v_add_f32_e32 v45, v115, v45                               // 00000000EDE8: 025A5B73
	v_add_f32_e32 v45, v116, v45                               // 00000000EDEC: 025A5B74
	v_add_f32_e32 v45, v117, v45                               // 00000000EDF0: 025A5B75
	v_add_f32_e32 v45, v118, v45                               // 00000000EDF4: 025A5B76
	v_add_f32_e32 v45, v119, v45                               // 00000000EDF8: 025A5B77
	v_add_f32_e32 v45, v120, v45                               // 00000000EDFC: 025A5B78
	v_add_f32_e32 v45, v121, v45                               // 00000000EE00: 025A5B79
	v_add_f32_e32 v45, v122, v45                               // 00000000EE04: 025A5B7A
	v_add_f32_e32 v45, v123, v45                               // 00000000EE08: 025A5B7B
	v_add_f32_e32 v45, v124, v45                               // 00000000EE0C: 025A5B7C
	v_add_f32_e32 v45, v125, v45                               // 00000000EE10: 025A5B7D
	v_add_f32_e32 v45, v126, v45                               // 00000000EE14: 025A5B7E
	v_add_f32_e32 v45, v127, v45                               // 00000000EE18: 025A5B7F
	v_add_f32_e32 v43, v45, v43                                // 00000000EE1C: 0256572D
	v_cvt_pkrtz_f16_f32 v39, v112, v113                        // 00000000EE20: D2960027 0002E370
	v_mov_b32_e32 v112, v39                                    // 00000000EE28: 7EE00327
	v_cvt_pkrtz_f16_f32 v39, v114, v115                        // 00000000EE2C: D2960027 0002E772
	v_mov_b32_e32 v113, v39                                    // 00000000EE34: 7EE20327
	v_cvt_pkrtz_f16_f32 v39, v116, v117                        // 00000000EE38: D2960027 0002EB74
	v_mov_b32_e32 v114, v39                                    // 00000000EE40: 7EE40327
	v_cvt_pkrtz_f16_f32 v39, v118, v119                        // 00000000EE44: D2960027 0002EF76
	v_mov_b32_e32 v115, v39                                    // 00000000EE4C: 7EE60327
	v_cvt_pkrtz_f16_f32 v39, v120, v121                        // 00000000EE50: D2960027 0002F378
	v_mov_b32_e32 v116, v39                                    // 00000000EE58: 7EE80327
	v_cvt_pkrtz_f16_f32 v39, v122, v123                        // 00000000EE5C: D2960027 0002F77A
	v_mov_b32_e32 v117, v39                                    // 00000000EE64: 7EEA0327
	v_cvt_pkrtz_f16_f32 v39, v124, v125                        // 00000000EE68: D2960027 0002FB7C
	v_mov_b32_e32 v118, v39                                    // 00000000EE70: 7EEC0327
	v_cvt_pkrtz_f16_f32 v39, v126, v127                        // 00000000EE74: D2960027 0002FF7E
	v_mov_b32_e32 v119, v39                                    // 00000000EE7C: 7EEE0327
	ds_write_b64 v13, v[112:113] offset:4096                   // 00000000EE80: D89A1000 0000700D
	ds_write_b64 v13, v[114:115] offset:6144                   // 00000000EE88: D89A1800 0000720D
	ds_write_b64 v13, v[116:117] offset:8192                   // 00000000EE90: D89A2000 0000740D
	ds_write_b64 v13, v[118:119] offset:10240                  // 00000000EE98: D89A2800 0000760D
	s_waitcnt lgkmcnt(0)                                       // 00000000EEA0: BF8CC07F
	s_barrier                                                  // 00000000EEA4: BF8A0000
	ds_read_b64 v[112:113], v12 offset:4096                    // 00000000EEA8: D8EC1000 7000000C
	ds_read_b64 v[114:115], v12 offset:4224                    // 00000000EEB0: D8EC1080 7200000C
	ds_read_b64 v[116:117], v12 offset:5120                    // 00000000EEB8: D8EC1400 7400000C
	ds_read_b64 v[118:119], v12 offset:5248                    // 00000000EEC0: D8EC1480 7600000C
	ds_read_b64 v[120:121], v12 offset:6144                    // 00000000EEC8: D8EC1800 7800000C
	ds_read_b64 v[122:123], v12 offset:6272                    // 00000000EED0: D8EC1880 7A00000C
	ds_read_b64 v[124:125], v12 offset:7168                    // 00000000EED8: D8EC1C00 7C00000C
	ds_read_b64 v[126:127], v12 offset:7296                    // 00000000EEE0: D8EC1C80 7E00000C
	ds_read_b64 v[128:129], v12 offset:8192                    // 00000000EEE8: D8EC2000 8000000C
	ds_read_b64 v[130:131], v12 offset:8320                    // 00000000EEF0: D8EC2080 8200000C
	ds_read_b64 v[132:133], v12 offset:9216                    // 00000000EEF8: D8EC2400 8400000C
	ds_read_b64 v[134:135], v12 offset:9344                    // 00000000EF00: D8EC2480 8600000C
	ds_read_b64 v[136:137], v12 offset:10240                   // 00000000EF08: D8EC2800 8800000C
	ds_read_b64 v[138:139], v12 offset:10368                   // 00000000EF10: D8EC2880 8A00000C
	ds_read_b64 v[140:141], v12 offset:11264                   // 00000000EF18: D8EC2C00 8C00000C
	ds_read_b64 v[142:143], v12 offset:11392                   // 00000000EF20: D8EC2C80 8E00000C
	s_waitcnt lgkmcnt(0)                                       // 00000000EF28: BF8CC07F
	s_nop 8                                                    // 00000000EF2C: BF800008
	v_mov_b32_e32 v50, v144                                    // 00000000EF30: 7E640390
	v_max3_f32 v50, v144, v145, v50                            // 00000000EF34: D1D30032 04CB2390
	v_max3_f32 v50, v146, v147, v50                            // 00000000EF3C: D1D30032 04CB2792
	v_max3_f32 v50, v148, v149, v50                            // 00000000EF44: D1D30032 04CB2B94
	v_max3_f32 v50, v150, v151, v50                            // 00000000EF4C: D1D30032 04CB2F96
	v_max3_f32 v50, v152, v153, v50                            // 00000000EF54: D1D30032 04CB3398
	v_max3_f32 v50, v154, v155, v50                            // 00000000EF5C: D1D30032 04CB379A
	v_max3_f32 v50, v156, v157, v50                            // 00000000EF64: D1D30032 04CB3B9C
	v_max3_f32 v50, v158, v159, v50                            // 00000000EF6C: D1D30032 04CB3F9E
	ds_write_b32 v11, v50                                      // 00000000EF74: D81A0000 0000320B
	s_waitcnt lgkmcnt(0)                                       // 00000000EF7C: BF8CC07F
	s_barrier                                                  // 00000000EF80: BF8A0000
	ds_read_b32 v64, v10                                       // 00000000EF84: D86C0000 4000000A
	ds_read_b32 v65, v10 offset:64                             // 00000000EF8C: D86C0040 4100000A
	ds_read_b32 v66, v10 offset:128                            // 00000000EF94: D86C0080 4200000A
	ds_read_b32 v67, v10 offset:192                            // 00000000EF9C: D86C00C0 4300000A
	ds_read_b32 v68, v10 offset:256                            // 00000000EFA4: D86C0100 4400000A
	ds_read_b32 v69, v10 offset:320                            // 00000000EFAC: D86C0140 4500000A
	ds_read_b32 v70, v10 offset:384                            // 00000000EFB4: D86C0180 4600000A
	ds_read_b32 v71, v10 offset:448                            // 00000000EFBC: D86C01C0 4700000A
	ds_read_b32 v72, v10 offset:512                            // 00000000EFC4: D86C0200 4800000A
	ds_read_b32 v73, v10 offset:576                            // 00000000EFCC: D86C0240 4900000A
	ds_read_b32 v74, v10 offset:640                            // 00000000EFD4: D86C0280 4A00000A
	ds_read_b32 v75, v10 offset:704                            // 00000000EFDC: D86C02C0 4B00000A
	ds_read_b32 v76, v10 offset:768                            // 00000000EFE4: D86C0300 4C00000A
	ds_read_b32 v77, v10 offset:832                            // 00000000EFEC: D86C0340 4D00000A
	ds_read_b32 v78, v10 offset:896                            // 00000000EFF4: D86C0380 4E00000A
	ds_read_b32 v79, v10 offset:960                            // 00000000EFFC: D86C03C0 4F00000A
	s_waitcnt lgkmcnt(0)                                       // 00000000F004: BF8CC07F
	v_max3_f32 v50, v64, v65, v50                              // 00000000F008: D1D30032 04CA8340
	v_max3_f32 v50, v66, v67, v50                              // 00000000F010: D1D30032 04CA8742
	v_max3_f32 v50, v68, v69, v50                              // 00000000F018: D1D30032 04CA8B44
	v_max3_f32 v50, v70, v71, v50                              // 00000000F020: D1D30032 04CA8F46
	v_max3_f32 v50, v72, v73, v50                              // 00000000F028: D1D30032 04CA9348
	v_max3_f32 v50, v74, v75, v50                              // 00000000F030: D1D30032 04CA974A
	v_max3_f32 v50, v76, v77, v50                              // 00000000F038: D1D30032 04CA9B4C
	v_max3_f32 v50, v78, v79, v50                              // 00000000F040: D1D30032 04CA9F4E
	v_cmp_eq_u32_e64 s[40:41], v55, v15                        // 00000000F048: D0CA0028 00021F37
	s_nop 1                                                    // 00000000F050: BF800001
	v_max_f32_e32 v16, v50, v15                                // 00000000F054: 16201F32
	v_sub_f32_e32 v52, v15, v16                                // 00000000F058: 0468210F
	v_cndmask_b32_e64 v52, v52, 0, s[40:41]                    // 00000000F05C: D1000034 00A10134
	v_mov_b32_e32 v15, v16                                     // 00000000F064: 7E1E0310
	v_mul_f32_e32 v53, s64, v16                                // 00000000F068: 0A6A2040
	v_mul_f32_e32 v52, s64, v52                                // 00000000F06C: 0A686840
	v_exp_f32_e32 v52, v52                                     // 00000000F070: 7E684134
	v_fma_f32 v144, v144, s64, -v53                            // 00000000F074: D1CB0090 84D48190
	v_fma_f32 v145, v145, s64, -v53                            // 00000000F07C: D1CB0091 84D48191
	v_fma_f32 v146, v146, s64, -v53                            // 00000000F084: D1CB0092 84D48192
	v_fma_f32 v147, v147, s64, -v53                            // 00000000F08C: D1CB0093 84D48193
	v_fma_f32 v148, v148, s64, -v53                            // 00000000F094: D1CB0094 84D48194
	v_fma_f32 v149, v149, s64, -v53                            // 00000000F09C: D1CB0095 84D48195
	v_fma_f32 v150, v150, s64, -v53                            // 00000000F0A4: D1CB0096 84D48196
	v_fma_f32 v151, v151, s64, -v53                            // 00000000F0AC: D1CB0097 84D48197
	v_fma_f32 v152, v152, s64, -v53                            // 00000000F0B4: D1CB0098 84D48198
	v_fma_f32 v153, v153, s64, -v53                            // 00000000F0BC: D1CB0099 84D48199
	v_fma_f32 v154, v154, s64, -v53                            // 00000000F0C4: D1CB009A 84D4819A
	v_fma_f32 v155, v155, s64, -v53                            // 00000000F0CC: D1CB009B 84D4819B
	v_fma_f32 v156, v156, s64, -v53                            // 00000000F0D4: D1CB009C 84D4819C
	v_fma_f32 v157, v157, s64, -v53                            // 00000000F0DC: D1CB009D 84D4819D
	v_fma_f32 v158, v158, s64, -v53                            // 00000000F0E4: D1CB009E 84D4819E
	v_fma_f32 v159, v159, s64, -v53                            // 00000000F0EC: D1CB009F 84D4819F
	v_exp_f32_e32 v144, v144                                   // 00000000F0F4: 7F204190
	v_exp_f32_e32 v145, v145                                   // 00000000F0F8: 7F224191
	v_exp_f32_e32 v146, v146                                   // 00000000F0FC: 7F244192
	v_exp_f32_e32 v147, v147                                   // 00000000F100: 7F264193
	v_exp_f32_e32 v148, v148                                   // 00000000F104: 7F284194
	v_exp_f32_e32 v149, v149                                   // 00000000F108: 7F2A4195
	v_exp_f32_e32 v150, v150                                   // 00000000F10C: 7F2C4196
	v_exp_f32_e32 v151, v151                                   // 00000000F110: 7F2E4197
	v_exp_f32_e32 v152, v152                                   // 00000000F114: 7F304198
	v_exp_f32_e32 v153, v153                                   // 00000000F118: 7F324199
	v_exp_f32_e32 v154, v154                                   // 00000000F11C: 7F34419A
	v_exp_f32_e32 v155, v155                                   // 00000000F120: 7F36419B
	v_exp_f32_e32 v156, v156                                   // 00000000F124: 7F38419C
	v_exp_f32_e32 v157, v157                                   // 00000000F128: 7F3A419D
	v_exp_f32_e32 v158, v158                                   // 00000000F12C: 7F3C419E
	v_exp_f32_e32 v159, v159                                   // 00000000F130: 7F3E419F
	v_mul_f32_e32 v44, v52, v44                                // 00000000F134: 0A585934
	v_mov_b32_e32 v45, v144                                    // 00000000F138: 7E5A0390
	v_add_f32_e32 v45, v145, v45                               // 00000000F13C: 025A5B91
	v_add_f32_e32 v45, v146, v45                               // 00000000F140: 025A5B92
	v_add_f32_e32 v45, v147, v45                               // 00000000F144: 025A5B93
	v_add_f32_e32 v45, v148, v45                               // 00000000F148: 025A5B94
	v_add_f32_e32 v45, v149, v45                               // 00000000F14C: 025A5B95
	v_add_f32_e32 v45, v150, v45                               // 00000000F150: 025A5B96
	v_add_f32_e32 v45, v151, v45                               // 00000000F154: 025A5B97
	v_add_f32_e32 v45, v152, v45                               // 00000000F158: 025A5B98
	v_add_f32_e32 v45, v153, v45                               // 00000000F15C: 025A5B99
	v_add_f32_e32 v45, v154, v45                               // 00000000F160: 025A5B9A
	v_add_f32_e32 v45, v155, v45                               // 00000000F164: 025A5B9B
	v_add_f32_e32 v45, v156, v45                               // 00000000F168: 025A5B9C
	v_add_f32_e32 v45, v157, v45                               // 00000000F16C: 025A5B9D
	v_add_f32_e32 v45, v158, v45                               // 00000000F170: 025A5B9E
	v_add_f32_e32 v45, v159, v45                               // 00000000F174: 025A5B9F
	v_add_f32_e32 v44, v45, v44                                // 00000000F178: 0258592D
	v_cvt_pkrtz_f16_f32 v39, v144, v145                        // 00000000F17C: D2960027 00032390
	v_mov_b32_e32 v144, v39                                    // 00000000F184: 7F200327
	v_cvt_pkrtz_f16_f32 v39, v146, v147                        // 00000000F188: D2960027 00032792
	v_mov_b32_e32 v145, v39                                    // 00000000F190: 7F220327
	v_cvt_pkrtz_f16_f32 v39, v148, v149                        // 00000000F194: D2960027 00032B94
	v_mov_b32_e32 v146, v39                                    // 00000000F19C: 7F240327
	v_cvt_pkrtz_f16_f32 v39, v150, v151                        // 00000000F1A0: D2960027 00032F96
	v_mov_b32_e32 v147, v39                                    // 00000000F1A8: 7F260327
	v_cvt_pkrtz_f16_f32 v39, v152, v153                        // 00000000F1AC: D2960027 00033398
	v_mov_b32_e32 v148, v39                                    // 00000000F1B4: 7F280327
	v_cvt_pkrtz_f16_f32 v39, v154, v155                        // 00000000F1B8: D2960027 0003379A
	v_mov_b32_e32 v149, v39                                    // 00000000F1C0: 7F2A0327
	v_cvt_pkrtz_f16_f32 v39, v156, v157                        // 00000000F1C4: D2960027 00033B9C
	v_mov_b32_e32 v150, v39                                    // 00000000F1CC: 7F2C0327
	v_cvt_pkrtz_f16_f32 v39, v158, v159                        // 00000000F1D0: D2960027 00033F9E
	v_mov_b32_e32 v151, v39                                    // 00000000F1D8: 7F2E0327
	ds_write_b64 v13, v[144:145] offset:4096                   // 00000000F1DC: D89A1000 0000900D
	ds_write_b64 v13, v[146:147] offset:6144                   // 00000000F1E4: D89A1800 0000920D
	ds_write_b64 v13, v[148:149] offset:8192                   // 00000000F1EC: D89A2000 0000940D
	ds_write_b64 v13, v[150:151] offset:10240                  // 00000000F1F4: D89A2800 0000960D
	s_waitcnt lgkmcnt(0)                                       // 00000000F1FC: BF8CC07F
	s_barrier                                                  // 00000000F200: BF8A0000
	ds_read_b64 v[144:145], v12 offset:4096                    // 00000000F204: D8EC1000 9000000C
	ds_read_b64 v[146:147], v12 offset:4224                    // 00000000F20C: D8EC1080 9200000C
	ds_read_b64 v[148:149], v12 offset:5120                    // 00000000F214: D8EC1400 9400000C
	ds_read_b64 v[150:151], v12 offset:5248                    // 00000000F21C: D8EC1480 9600000C
	ds_read_b64 v[152:153], v12 offset:6144                    // 00000000F224: D8EC1800 9800000C
	ds_read_b64 v[154:155], v12 offset:6272                    // 00000000F22C: D8EC1880 9A00000C
	ds_read_b64 v[156:157], v12 offset:7168                    // 00000000F234: D8EC1C00 9C00000C
	ds_read_b64 v[158:159], v12 offset:7296                    // 00000000F23C: D8EC1C80 9E00000C
	ds_read_b64 v[160:161], v12 offset:8192                    // 00000000F244: D8EC2000 A000000C
	ds_read_b64 v[162:163], v12 offset:8320                    // 00000000F24C: D8EC2080 A200000C
	ds_read_b64 v[164:165], v12 offset:9216                    // 00000000F254: D8EC2400 A400000C
	ds_read_b64 v[166:167], v12 offset:9344                    // 00000000F25C: D8EC2480 A600000C
	ds_read_b64 v[168:169], v12 offset:10240                   // 00000000F264: D8EC2800 A800000C
	ds_read_b64 v[170:171], v12 offset:10368                   // 00000000F26C: D8EC2880 AA00000C
	ds_read_b64 v[172:173], v12 offset:11264                   // 00000000F274: D8EC2C00 AC00000C
	ds_read_b64 v[174:175], v12 offset:11392                   // 00000000F27C: D8EC2C80 AE00000C
	s_waitcnt lgkmcnt(0)                                       // 00000000F284: BF8CC07F
	v_mul_f32_e32 v176, v51, v176                              // 00000000F288: 0B616133
	v_mul_f32_e32 v177, v51, v177                              // 00000000F28C: 0B636333
	v_mul_f32_e32 v178, v51, v178                              // 00000000F290: 0B656533
	v_mul_f32_e32 v179, v51, v179                              // 00000000F294: 0B676733
	v_mul_f32_e32 v180, v51, v180                              // 00000000F298: 0B696933
	v_mul_f32_e32 v181, v51, v181                              // 00000000F29C: 0B6B6B33
	v_mul_f32_e32 v182, v51, v182                              // 00000000F2A0: 0B6D6D33
	v_mul_f32_e32 v183, v51, v183                              // 00000000F2A4: 0B6F6F33
	v_mul_f32_e32 v184, v52, v184                              // 00000000F2A8: 0B717134
	v_mul_f32_e32 v185, v52, v185                              // 00000000F2AC: 0B737334
	v_mul_f32_e32 v186, v52, v186                              // 00000000F2B0: 0B757534
	v_mul_f32_e32 v187, v52, v187                              // 00000000F2B4: 0B777734
	v_mul_f32_e32 v188, v52, v188                              // 00000000F2B8: 0B797934
	v_mul_f32_e32 v189, v52, v189                              // 00000000F2BC: 0B7B7B34
	v_mul_f32_e32 v190, v52, v190                              // 00000000F2C0: 0B7D7D34
	v_mul_f32_e32 v191, v52, v191                              // 00000000F2C4: 0B7F7F34
	s_waitcnt vmcnt(0)                                         // 00000000F2C8: BF8C0F70
	s_barrier                                                  // 00000000F2CC: BF8A0000
	v_mfma_f32_16x16x16_f16 v[176:179], a[128:129], v[112:113], v[176:179]// 00000000F2D0: D3CD00B0 0EC2E180
	v_mfma_f32_16x16x16_f16 v[176:179], a[130:131], v[114:115], v[176:179]// 00000000F2D8: D3CD00B0 0EC2E582
	v_mfma_f32_16x16x16_f16 v[176:179], a[132:133], v[116:117], v[176:179]// 00000000F2E0: D3CD00B0 0EC2E984
	v_mfma_f32_16x16x16_f16 v[176:179], a[134:135], v[118:119], v[176:179]// 00000000F2E8: D3CD00B0 0EC2ED86
	v_mfma_f32_16x16x16_f16 v[176:179], a[136:137], v[120:121], v[176:179]// 00000000F2F0: D3CD00B0 0EC2F188
	v_mfma_f32_16x16x16_f16 v[176:179], a[138:139], v[122:123], v[176:179]// 00000000F2F8: D3CD00B0 0EC2F58A
	v_mfma_f32_16x16x16_f16 v[176:179], a[140:141], v[124:125], v[176:179]// 00000000F300: D3CD00B0 0EC2F98C
	v_mfma_f32_16x16x16_f16 v[176:179], a[142:143], v[126:127], v[176:179]// 00000000F308: D3CD00B0 0EC2FD8E
	v_mfma_f32_16x16x16_f16 v[176:179], a[144:145], v[128:129], v[176:179]// 00000000F310: D3CD00B0 0EC30190
	v_mfma_f32_16x16x16_f16 v[176:179], a[146:147], v[130:131], v[176:179]// 00000000F318: D3CD00B0 0EC30592
	v_mfma_f32_16x16x16_f16 v[176:179], a[148:149], v[132:133], v[176:179]// 00000000F320: D3CD00B0 0EC30994
	v_mfma_f32_16x16x16_f16 v[176:179], a[150:151], v[134:135], v[176:179]// 00000000F328: D3CD00B0 0EC30D96
	v_mfma_f32_16x16x16_f16 v[176:179], a[152:153], v[136:137], v[176:179]// 00000000F330: D3CD00B0 0EC31198
	v_mfma_f32_16x16x16_f16 v[176:179], a[154:155], v[138:139], v[176:179]// 00000000F338: D3CD00B0 0EC3159A
	v_mfma_f32_16x16x16_f16 v[176:179], a[156:157], v[140:141], v[176:179]// 00000000F340: D3CD00B0 0EC3199C
	v_mfma_f32_16x16x16_f16 v[176:179], a[158:159], v[142:143], v[176:179]// 00000000F348: D3CD00B0 0EC31D9E
	v_mfma_f32_16x16x16_f16 v[180:183], a[160:161], v[112:113], v[180:183]// 00000000F350: D3CD00B4 0ED2E1A0
	v_mfma_f32_16x16x16_f16 v[180:183], a[162:163], v[114:115], v[180:183]// 00000000F358: D3CD00B4 0ED2E5A2
	v_mfma_f32_16x16x16_f16 v[180:183], a[164:165], v[116:117], v[180:183]// 00000000F360: D3CD00B4 0ED2E9A4
	v_mfma_f32_16x16x16_f16 v[180:183], a[166:167], v[118:119], v[180:183]// 00000000F368: D3CD00B4 0ED2EDA6
	v_mfma_f32_16x16x16_f16 v[180:183], a[168:169], v[120:121], v[180:183]// 00000000F370: D3CD00B4 0ED2F1A8
	v_mfma_f32_16x16x16_f16 v[180:183], a[170:171], v[122:123], v[180:183]// 00000000F378: D3CD00B4 0ED2F5AA
	v_mfma_f32_16x16x16_f16 v[180:183], a[172:173], v[124:125], v[180:183]// 00000000F380: D3CD00B4 0ED2F9AC
	v_mfma_f32_16x16x16_f16 v[180:183], a[174:175], v[126:127], v[180:183]// 00000000F388: D3CD00B4 0ED2FDAE
	v_mfma_f32_16x16x16_f16 v[180:183], a[176:177], v[128:129], v[180:183]// 00000000F390: D3CD00B4 0ED301B0
	v_mfma_f32_16x16x16_f16 v[180:183], a[178:179], v[130:131], v[180:183]// 00000000F398: D3CD00B4 0ED305B2
	v_mfma_f32_16x16x16_f16 v[180:183], a[180:181], v[132:133], v[180:183]// 00000000F3A0: D3CD00B4 0ED309B4
	v_mfma_f32_16x16x16_f16 v[180:183], a[182:183], v[134:135], v[180:183]// 00000000F3A8: D3CD00B4 0ED30DB6
	v_mfma_f32_16x16x16_f16 v[180:183], a[184:185], v[136:137], v[180:183]// 00000000F3B0: D3CD00B4 0ED311B8
	v_mfma_f32_16x16x16_f16 v[180:183], a[186:187], v[138:139], v[180:183]// 00000000F3B8: D3CD00B4 0ED315BA
	v_mfma_f32_16x16x16_f16 v[180:183], a[188:189], v[140:141], v[180:183]// 00000000F3C0: D3CD00B4 0ED319BC
	v_mfma_f32_16x16x16_f16 v[180:183], a[190:191], v[142:143], v[180:183]// 00000000F3C8: D3CD00B4 0ED31DBE
	v_mfma_f32_16x16x16_f16 v[184:187], a[128:129], v[144:145], v[184:187]// 00000000F3D0: D3CD00B8 0EE32180
	v_mfma_f32_16x16x16_f16 v[184:187], a[130:131], v[146:147], v[184:187]// 00000000F3D8: D3CD00B8 0EE32582
	v_mfma_f32_16x16x16_f16 v[184:187], a[132:133], v[148:149], v[184:187]// 00000000F3E0: D3CD00B8 0EE32984
	v_mfma_f32_16x16x16_f16 v[184:187], a[134:135], v[150:151], v[184:187]// 00000000F3E8: D3CD00B8 0EE32D86
	v_mfma_f32_16x16x16_f16 v[184:187], a[136:137], v[152:153], v[184:187]// 00000000F3F0: D3CD00B8 0EE33188
	v_mfma_f32_16x16x16_f16 v[184:187], a[138:139], v[154:155], v[184:187]// 00000000F3F8: D3CD00B8 0EE3358A
	v_mfma_f32_16x16x16_f16 v[184:187], a[140:141], v[156:157], v[184:187]// 00000000F400: D3CD00B8 0EE3398C
	v_mfma_f32_16x16x16_f16 v[184:187], a[142:143], v[158:159], v[184:187]// 00000000F408: D3CD00B8 0EE33D8E
	v_mfma_f32_16x16x16_f16 v[184:187], a[144:145], v[160:161], v[184:187]// 00000000F410: D3CD00B8 0EE34190
	v_mfma_f32_16x16x16_f16 v[184:187], a[146:147], v[162:163], v[184:187]// 00000000F418: D3CD00B8 0EE34592
	v_mfma_f32_16x16x16_f16 v[184:187], a[148:149], v[164:165], v[184:187]// 00000000F420: D3CD00B8 0EE34994
	v_mfma_f32_16x16x16_f16 v[184:187], a[150:151], v[166:167], v[184:187]// 00000000F428: D3CD00B8 0EE34D96
	v_mfma_f32_16x16x16_f16 v[184:187], a[152:153], v[168:169], v[184:187]// 00000000F430: D3CD00B8 0EE35198
	v_mfma_f32_16x16x16_f16 v[184:187], a[154:155], v[170:171], v[184:187]// 00000000F438: D3CD00B8 0EE3559A
	v_mfma_f32_16x16x16_f16 v[184:187], a[156:157], v[172:173], v[184:187]// 00000000F440: D3CD00B8 0EE3599C
	v_mfma_f32_16x16x16_f16 v[184:187], a[158:159], v[174:175], v[184:187]// 00000000F448: D3CD00B8 0EE35D9E
	v_mfma_f32_16x16x16_f16 v[188:191], a[160:161], v[144:145], v[188:191]// 00000000F450: D3CD00BC 0EF321A0
	v_mfma_f32_16x16x16_f16 v[188:191], a[162:163], v[146:147], v[188:191]// 00000000F458: D3CD00BC 0EF325A2
	v_mfma_f32_16x16x16_f16 v[188:191], a[164:165], v[148:149], v[188:191]// 00000000F460: D3CD00BC 0EF329A4
	v_mfma_f32_16x16x16_f16 v[188:191], a[166:167], v[150:151], v[188:191]// 00000000F468: D3CD00BC 0EF32DA6
	v_mfma_f32_16x16x16_f16 v[188:191], a[168:169], v[152:153], v[188:191]// 00000000F470: D3CD00BC 0EF331A8
	v_mfma_f32_16x16x16_f16 v[188:191], a[170:171], v[154:155], v[188:191]// 00000000F478: D3CD00BC 0EF335AA
	v_mfma_f32_16x16x16_f16 v[188:191], a[172:173], v[156:157], v[188:191]// 00000000F480: D3CD00BC 0EF339AC
	v_mfma_f32_16x16x16_f16 v[188:191], a[174:175], v[158:159], v[188:191]// 00000000F488: D3CD00BC 0EF33DAE
	v_mfma_f32_16x16x16_f16 v[188:191], a[176:177], v[160:161], v[188:191]// 00000000F490: D3CD00BC 0EF341B0
	v_mfma_f32_16x16x16_f16 v[188:191], a[178:179], v[162:163], v[188:191]// 00000000F498: D3CD00BC 0EF345B2
	v_mfma_f32_16x16x16_f16 v[188:191], a[180:181], v[164:165], v[188:191]// 00000000F4A0: D3CD00BC 0EF349B4
	v_mfma_f32_16x16x16_f16 v[188:191], a[182:183], v[166:167], v[188:191]// 00000000F4A8: D3CD00BC 0EF34DB6
	v_mfma_f32_16x16x16_f16 v[188:191], a[184:185], v[168:169], v[188:191]// 00000000F4B0: D3CD00BC 0EF351B8
	v_mfma_f32_16x16x16_f16 v[188:191], a[186:187], v[170:171], v[188:191]// 00000000F4B8: D3CD00BC 0EF355BA
	v_mfma_f32_16x16x16_f16 v[188:191], a[188:189], v[172:173], v[188:191]// 00000000F4C0: D3CD00BC 0EF359BC
	v_mfma_f32_16x16x16_f16 v[188:191], a[190:191], v[174:175], v[188:191]// 00000000F4C8: D3CD00BC 0EF35DBE
	s_nop 8                                                    // 00000000F4D0: BF800008
	s_branch label_393C                                        // 00000000F4D4: BF820485

000000000000f4d8 <label_34B7>:
	s_waitcnt vmcnt(16) lgkmcnt(0)                             // 00000000F4D8: BF8C4070
	s_barrier                                                  // 00000000F4DC: BF8A0000
	v_mfma_f32_16x16x16_f16 v[112:115], a[64:65], v[80:81], 0  // 00000000F4E0: D3CD0070 0A02A140
	v_mfma_f32_16x16x16_f16 v[112:115], a[66:67], v[82:83], v[112:115]// 00000000F4E8: D3CD0070 0DC2A542
	v_mfma_f32_16x16x16_f16 v[112:115], a[68:69], v[84:85], v[112:115]// 00000000F4F0: D3CD0070 0DC2A944
	v_mfma_f32_16x16x16_f16 v[112:115], a[70:71], v[86:87], v[112:115]// 00000000F4F8: D3CD0070 0DC2AD46
	v_mfma_f32_16x16x16_f16 v[112:115], a[72:73], v[88:89], v[112:115]// 00000000F500: D3CD0070 0DC2B148
	v_mfma_f32_16x16x16_f16 v[112:115], a[74:75], v[90:91], v[112:115]// 00000000F508: D3CD0070 0DC2B54A
	v_mfma_f32_16x16x16_f16 v[112:115], a[76:77], v[92:93], v[112:115]// 00000000F510: D3CD0070 0DC2B94C
	v_mfma_f32_16x16x16_f16 v[112:115], a[78:79], v[94:95], v[112:115]// 00000000F518: D3CD0070 0DC2BD4E
	v_mfma_f32_16x16x16_f16 v[116:119], a[80:81], v[80:81], 0  // 00000000F520: D3CD0074 0A02A150
	v_mfma_f32_16x16x16_f16 v[116:119], a[82:83], v[82:83], v[116:119]// 00000000F528: D3CD0074 0DD2A552
	v_mfma_f32_16x16x16_f16 v[116:119], a[84:85], v[84:85], v[116:119]// 00000000F530: D3CD0074 0DD2A954
	v_mfma_f32_16x16x16_f16 v[116:119], a[86:87], v[86:87], v[116:119]// 00000000F538: D3CD0074 0DD2AD56
	v_mfma_f32_16x16x16_f16 v[116:119], a[88:89], v[88:89], v[116:119]// 00000000F540: D3CD0074 0DD2B158
	v_mfma_f32_16x16x16_f16 v[116:119], a[90:91], v[90:91], v[116:119]// 00000000F548: D3CD0074 0DD2B55A
	v_mfma_f32_16x16x16_f16 v[116:119], a[92:93], v[92:93], v[116:119]// 00000000F550: D3CD0074 0DD2B95C
	v_mfma_f32_16x16x16_f16 v[116:119], a[94:95], v[94:95], v[116:119]// 00000000F558: D3CD0074 0DD2BD5E
	v_mfma_f32_16x16x16_f16 v[120:123], a[96:97], v[80:81], 0  // 00000000F560: D3CD0078 0A02A160
	v_mfma_f32_16x16x16_f16 v[120:123], a[98:99], v[82:83], v[120:123]// 00000000F568: D3CD0078 0DE2A562
	v_mfma_f32_16x16x16_f16 v[120:123], a[100:101], v[84:85], v[120:123]// 00000000F570: D3CD0078 0DE2A964
	v_mfma_f32_16x16x16_f16 v[120:123], a[102:103], v[86:87], v[120:123]// 00000000F578: D3CD0078 0DE2AD66
	v_mfma_f32_16x16x16_f16 v[120:123], a[104:105], v[88:89], v[120:123]// 00000000F580: D3CD0078 0DE2B168
	v_mfma_f32_16x16x16_f16 v[120:123], a[106:107], v[90:91], v[120:123]// 00000000F588: D3CD0078 0DE2B56A
	v_mfma_f32_16x16x16_f16 v[120:123], a[108:109], v[92:93], v[120:123]// 00000000F590: D3CD0078 0DE2B96C
	v_mfma_f32_16x16x16_f16 v[120:123], a[110:111], v[94:95], v[120:123]// 00000000F598: D3CD0078 0DE2BD6E
	v_mfma_f32_16x16x16_f16 v[124:127], a[112:113], v[80:81], 0// 00000000F5A0: D3CD007C 0A02A170
	v_mfma_f32_16x16x16_f16 v[124:127], a[114:115], v[82:83], v[124:127]// 00000000F5A8: D3CD007C 0DF2A572
	v_mfma_f32_16x16x16_f16 v[124:127], a[116:117], v[84:85], v[124:127]// 00000000F5B0: D3CD007C 0DF2A974
	v_mfma_f32_16x16x16_f16 v[124:127], a[118:119], v[86:87], v[124:127]// 00000000F5B8: D3CD007C 0DF2AD76
	v_mfma_f32_16x16x16_f16 v[124:127], a[120:121], v[88:89], v[124:127]// 00000000F5C0: D3CD007C 0DF2B178
	v_mfma_f32_16x16x16_f16 v[124:127], a[122:123], v[90:91], v[124:127]// 00000000F5C8: D3CD007C 0DF2B57A
	v_mfma_f32_16x16x16_f16 v[124:127], a[124:125], v[92:93], v[124:127]// 00000000F5D0: D3CD007C 0DF2B97C
	v_mfma_f32_16x16x16_f16 v[124:127], a[126:127], v[94:95], v[124:127]// 00000000F5D8: D3CD007C 0DF2BD7E
	v_mfma_f32_16x16x16_f16 v[144:147], a[64:65], v[96:97], 0  // 00000000F5E0: D3CD0090 0A02C140
	v_mfma_f32_16x16x16_f16 v[144:147], a[66:67], v[98:99], v[144:147]// 00000000F5E8: D3CD0090 0E42C542
	v_mfma_f32_16x16x16_f16 v[144:147], a[68:69], v[100:101], v[144:147]// 00000000F5F0: D3CD0090 0E42C944
	v_mfma_f32_16x16x16_f16 v[144:147], a[70:71], v[102:103], v[144:147]// 00000000F5F8: D3CD0090 0E42CD46
	v_mfma_f32_16x16x16_f16 v[144:147], a[72:73], v[104:105], v[144:147]// 00000000F600: D3CD0090 0E42D148
	v_mfma_f32_16x16x16_f16 v[144:147], a[74:75], v[106:107], v[144:147]// 00000000F608: D3CD0090 0E42D54A
	v_mfma_f32_16x16x16_f16 v[144:147], a[76:77], v[108:109], v[144:147]// 00000000F610: D3CD0090 0E42D94C
	v_mfma_f32_16x16x16_f16 v[144:147], a[78:79], v[110:111], v[144:147]// 00000000F618: D3CD0090 0E42DD4E
	v_mfma_f32_16x16x16_f16 v[148:151], a[80:81], v[96:97], 0  // 00000000F620: D3CD0094 0A02C150
	v_mfma_f32_16x16x16_f16 v[148:151], a[82:83], v[98:99], v[148:151]// 00000000F628: D3CD0094 0E52C552
	v_mfma_f32_16x16x16_f16 v[148:151], a[84:85], v[100:101], v[148:151]// 00000000F630: D3CD0094 0E52C954
	v_mfma_f32_16x16x16_f16 v[148:151], a[86:87], v[102:103], v[148:151]// 00000000F638: D3CD0094 0E52CD56
	v_mfma_f32_16x16x16_f16 v[148:151], a[88:89], v[104:105], v[148:151]// 00000000F640: D3CD0094 0E52D158
	v_mfma_f32_16x16x16_f16 v[148:151], a[90:91], v[106:107], v[148:151]// 00000000F648: D3CD0094 0E52D55A
	v_mfma_f32_16x16x16_f16 v[148:151], a[92:93], v[108:109], v[148:151]// 00000000F650: D3CD0094 0E52D95C
	v_mfma_f32_16x16x16_f16 v[148:151], a[94:95], v[110:111], v[148:151]// 00000000F658: D3CD0094 0E52DD5E
	v_mfma_f32_16x16x16_f16 v[152:155], a[96:97], v[96:97], 0  // 00000000F660: D3CD0098 0A02C160
	v_mfma_f32_16x16x16_f16 v[152:155], a[98:99], v[98:99], v[152:155]// 00000000F668: D3CD0098 0E62C562
	v_mfma_f32_16x16x16_f16 v[152:155], a[100:101], v[100:101], v[152:155]// 00000000F670: D3CD0098 0E62C964
	v_mfma_f32_16x16x16_f16 v[152:155], a[102:103], v[102:103], v[152:155]// 00000000F678: D3CD0098 0E62CD66
	v_mfma_f32_16x16x16_f16 v[152:155], a[104:105], v[104:105], v[152:155]// 00000000F680: D3CD0098 0E62D168
	v_mfma_f32_16x16x16_f16 v[152:155], a[106:107], v[106:107], v[152:155]// 00000000F688: D3CD0098 0E62D56A
	v_mfma_f32_16x16x16_f16 v[152:155], a[108:109], v[108:109], v[152:155]// 00000000F690: D3CD0098 0E62D96C
	v_mfma_f32_16x16x16_f16 v[152:155], a[110:111], v[110:111], v[152:155]// 00000000F698: D3CD0098 0E62DD6E
	v_mfma_f32_16x16x16_f16 v[156:159], a[112:113], v[96:97], 0// 00000000F6A0: D3CD009C 0A02C170
	v_mfma_f32_16x16x16_f16 v[156:159], a[114:115], v[98:99], v[156:159]// 00000000F6A8: D3CD009C 0E72C572
	v_mfma_f32_16x16x16_f16 v[156:159], a[116:117], v[100:101], v[156:159]// 00000000F6B0: D3CD009C 0E72C974
	v_mfma_f32_16x16x16_f16 v[156:159], a[118:119], v[102:103], v[156:159]// 00000000F6B8: D3CD009C 0E72CD76
	v_mfma_f32_16x16x16_f16 v[156:159], a[120:121], v[104:105], v[156:159]// 00000000F6C0: D3CD009C 0E72D178
	v_mfma_f32_16x16x16_f16 v[156:159], a[122:123], v[106:107], v[156:159]// 00000000F6C8: D3CD009C 0E72D57A
	v_mfma_f32_16x16x16_f16 v[156:159], a[124:125], v[108:109], v[156:159]// 00000000F6D0: D3CD009C 0E72D97C
	v_mfma_f32_16x16x16_f16 v[156:159], a[126:127], v[110:111], v[156:159]// 00000000F6D8: D3CD009C 0E72DD7E
	s_cmp_le_i32 s90, s89                                      // 00000000F6E0: BF05595A
	s_cbranch_scc1 label_35AE                                  // 00000000F6E4: BF850073
	v_mov_b32_e32 v55, 0xff800000                              // 00000000F6E8: 7E6E02FF FF800000
	s_mov_b32 s60, s90                                         // 00000000F6F0: BEBC005A
	s_add_u32 s61, s89, 0xff                                   // 00000000F6F4: 803DFF59 000000FF
	v_mov_b32_e32 v39, s61                                     // 00000000F6FC: 7E4E023D
	v_lshrrev_b32_e32 v31, 4, v0                               // 00000000F700: 203E0084
	v_mul_i32_i24_e32 v31, 4, v31                              // 00000000F704: 0C3E3E84
	v_add_u32_e32 v31, s60, v31                                // 00000000F708: 683E3E3C
	v_and_b32_e32 v40, 15, v0                                  // 00000000F70C: 2650008F
	v_lshrrev_b32_e32 v40, 3, v40                              // 00000000F710: 20505083
	s_mov_b32 s61, 0                                           // 00000000F714: BEBD0080
	s_mul_i32 s60, 16, s7                                      // 00000000F718: 923C0790
	v_add_u32_e32 v40, s61, v40                                // 00000000F71C: 6850503D
	v_sub_u32_e32 v31, v31, v40                                // 00000000F720: 6A3E511F
	v_add_u32_e32 v31, s60, v31                                // 00000000F724: 683E3E3C
	v_add_u32_e32 v32, 1, v31                                  // 00000000F728: 68403E81
	v_add_u32_e32 v33, 2, v31                                  // 00000000F72C: 68423E82
	v_add_u32_e32 v34, 3, v31                                  // 00000000F730: 68443E83
	v_cmp_le_u32_e64 s[40:41], v31, v39                        // 00000000F734: D0CB0028 00024F1F
	v_add_u32_e32 v31, 64, v31                                 // 00000000F73C: 683E3EC0
	s_nop 0                                                    // 00000000F740: BF800000
	v_cndmask_b32_e64 v112, v55, v112, s[40:41]                // 00000000F744: D1000070 00A2E137
	v_cmp_le_u32_e64 s[40:41], v32, v39                        // 00000000F74C: D0CB0028 00024F20
	v_add_u32_e32 v32, 64, v32                                 // 00000000F754: 684040C0
	s_nop 0                                                    // 00000000F758: BF800000
	v_cndmask_b32_e64 v113, v55, v113, s[40:41]                // 00000000F75C: D1000071 00A2E337
	v_cmp_le_u32_e64 s[40:41], v33, v39                        // 00000000F764: D0CB0028 00024F21
	v_add_u32_e32 v33, 64, v33                                 // 00000000F76C: 684242C0
	s_nop 0                                                    // 00000000F770: BF800000
	v_cndmask_b32_e64 v114, v55, v114, s[40:41]                // 00000000F774: D1000072 00A2E537
	v_cmp_le_u32_e64 s[40:41], v34, v39                        // 00000000F77C: D0CB0028 00024F22
	v_add_u32_e32 v34, 64, v34                                 // 00000000F784: 684444C0
	s_nop 0                                                    // 00000000F788: BF800000
	v_cndmask_b32_e64 v115, v55, v115, s[40:41]                // 00000000F78C: D1000073 00A2E737
	v_cmp_le_u32_e64 s[40:41], v31, v39                        // 00000000F794: D0CB0028 00024F1F
	v_add_u32_e32 v31, 64, v31                                 // 00000000F79C: 683E3EC0
	s_nop 0                                                    // 00000000F7A0: BF800000
	v_cndmask_b32_e64 v116, v55, v116, s[40:41]                // 00000000F7A4: D1000074 00A2E937
	v_cmp_le_u32_e64 s[40:41], v32, v39                        // 00000000F7AC: D0CB0028 00024F20
	v_add_u32_e32 v32, 64, v32                                 // 00000000F7B4: 684040C0
	s_nop 0                                                    // 00000000F7B8: BF800000
	v_cndmask_b32_e64 v117, v55, v117, s[40:41]                // 00000000F7BC: D1000075 00A2EB37
	v_cmp_le_u32_e64 s[40:41], v33, v39                        // 00000000F7C4: D0CB0028 00024F21
	v_add_u32_e32 v33, 64, v33                                 // 00000000F7CC: 684242C0
	s_nop 0                                                    // 00000000F7D0: BF800000
	v_cndmask_b32_e64 v118, v55, v118, s[40:41]                // 00000000F7D4: D1000076 00A2ED37
	v_cmp_le_u32_e64 s[40:41], v34, v39                        // 00000000F7DC: D0CB0028 00024F22
	v_add_u32_e32 v34, 64, v34                                 // 00000000F7E4: 684444C0
	s_nop 0                                                    // 00000000F7E8: BF800000
	v_cndmask_b32_e64 v119, v55, v119, s[40:41]                // 00000000F7EC: D1000077 00A2EF37
	v_cmp_le_u32_e64 s[40:41], v31, v39                        // 00000000F7F4: D0CB0028 00024F1F
	v_add_u32_e32 v31, 64, v31                                 // 00000000F7FC: 683E3EC0
	s_nop 0                                                    // 00000000F800: BF800000
	v_cndmask_b32_e64 v120, v55, v120, s[40:41]                // 00000000F804: D1000078 00A2F137
	v_cmp_le_u32_e64 s[40:41], v32, v39                        // 00000000F80C: D0CB0028 00024F20
	v_add_u32_e32 v32, 64, v32                                 // 00000000F814: 684040C0
	s_nop 0                                                    // 00000000F818: BF800000
	v_cndmask_b32_e64 v121, v55, v121, s[40:41]                // 00000000F81C: D1000079 00A2F337
	v_cmp_le_u32_e64 s[40:41], v33, v39                        // 00000000F824: D0CB0028 00024F21
	v_add_u32_e32 v33, 64, v33                                 // 00000000F82C: 684242C0
	s_nop 0                                                    // 00000000F830: BF800000
	v_cndmask_b32_e64 v122, v55, v122, s[40:41]                // 00000000F834: D100007A 00A2F537
	v_cmp_le_u32_e64 s[40:41], v34, v39                        // 00000000F83C: D0CB0028 00024F22
	v_add_u32_e32 v34, 64, v34                                 // 00000000F844: 684444C0
	s_nop 0                                                    // 00000000F848: BF800000
	v_cndmask_b32_e64 v123, v55, v123, s[40:41]                // 00000000F84C: D100007B 00A2F737
	v_cmp_le_u32_e64 s[40:41], v31, v39                        // 00000000F854: D0CB0028 00024F1F
	v_add_u32_e32 v31, 64, v31                                 // 00000000F85C: 683E3EC0
	s_nop 0                                                    // 00000000F860: BF800000
	v_cndmask_b32_e64 v124, v55, v124, s[40:41]                // 00000000F864: D100007C 00A2F937
	v_cmp_le_u32_e64 s[40:41], v32, v39                        // 00000000F86C: D0CB0028 00024F20
	v_add_u32_e32 v32, 64, v32                                 // 00000000F874: 684040C0
	s_nop 0                                                    // 00000000F878: BF800000
	v_cndmask_b32_e64 v125, v55, v125, s[40:41]                // 00000000F87C: D100007D 00A2FB37
	v_cmp_le_u32_e64 s[40:41], v33, v39                        // 00000000F884: D0CB0028 00024F21
	v_add_u32_e32 v33, 64, v33                                 // 00000000F88C: 684242C0
	s_nop 0                                                    // 00000000F890: BF800000
	v_cndmask_b32_e64 v126, v55, v126, s[40:41]                // 00000000F894: D100007E 00A2FD37
	v_cmp_le_u32_e64 s[40:41], v34, v39                        // 00000000F89C: D0CB0028 00024F22
	v_add_u32_e32 v34, 64, v34                                 // 00000000F8A4: 684444C0
	s_nop 0                                                    // 00000000F8A8: BF800000
	v_cndmask_b32_e64 v127, v55, v127, s[40:41]                // 00000000F8AC: D100007F 00A2FF37

000000000000f8b4 <label_35AE>:
	s_cmp_le_i32 s90, s89                                      // 00000000F8B4: BF05595A
	s_cbranch_scc1 label_3623                                  // 00000000F8B8: BF850073
	v_mov_b32_e32 v55, 0xff800000                              // 00000000F8BC: 7E6E02FF FF800000
	s_mov_b32 s60, s90                                         // 00000000F8C4: BEBC005A
	s_add_u32 s61, s89, 0xff                                   // 00000000F8C8: 803DFF59 000000FF
	v_mov_b32_e32 v39, s61                                     // 00000000F8D0: 7E4E023D
	v_lshrrev_b32_e32 v31, 4, v0                               // 00000000F8D4: 203E0084
	v_mul_i32_i24_e32 v31, 4, v31                              // 00000000F8D8: 0C3E3E84
	v_add_u32_e32 v31, s60, v31                                // 00000000F8DC: 683E3E3C
	v_and_b32_e32 v40, 15, v0                                  // 00000000F8E0: 2650008F
	v_lshrrev_b32_e32 v40, 3, v40                              // 00000000F8E4: 20505083
	s_mov_b32 s61, 2                                           // 00000000F8E8: BEBD0082
	s_mul_i32 s60, 16, s7                                      // 00000000F8EC: 923C0790
	v_add_u32_e32 v40, s61, v40                                // 00000000F8F0: 6850503D
	v_sub_u32_e32 v31, v31, v40                                // 00000000F8F4: 6A3E511F
	v_add_u32_e32 v31, s60, v31                                // 00000000F8F8: 683E3E3C
	v_add_u32_e32 v32, 1, v31                                  // 00000000F8FC: 68403E81
	v_add_u32_e32 v33, 2, v31                                  // 00000000F900: 68423E82
	v_add_u32_e32 v34, 3, v31                                  // 00000000F904: 68443E83
	v_cmp_le_u32_e64 s[40:41], v31, v39                        // 00000000F908: D0CB0028 00024F1F
	v_add_u32_e32 v31, 64, v31                                 // 00000000F910: 683E3EC0
	s_nop 0                                                    // 00000000F914: BF800000
	v_cndmask_b32_e64 v144, v55, v144, s[40:41]                // 00000000F918: D1000090 00A32137
	v_cmp_le_u32_e64 s[40:41], v32, v39                        // 00000000F920: D0CB0028 00024F20
	v_add_u32_e32 v32, 64, v32                                 // 00000000F928: 684040C0
	s_nop 0                                                    // 00000000F92C: BF800000
	v_cndmask_b32_e64 v145, v55, v145, s[40:41]                // 00000000F930: D1000091 00A32337
	v_cmp_le_u32_e64 s[40:41], v33, v39                        // 00000000F938: D0CB0028 00024F21
	v_add_u32_e32 v33, 64, v33                                 // 00000000F940: 684242C0
	s_nop 0                                                    // 00000000F944: BF800000
	v_cndmask_b32_e64 v146, v55, v146, s[40:41]                // 00000000F948: D1000092 00A32537
	v_cmp_le_u32_e64 s[40:41], v34, v39                        // 00000000F950: D0CB0028 00024F22
	v_add_u32_e32 v34, 64, v34                                 // 00000000F958: 684444C0
	s_nop 0                                                    // 00000000F95C: BF800000
	v_cndmask_b32_e64 v147, v55, v147, s[40:41]                // 00000000F960: D1000093 00A32737
	v_cmp_le_u32_e64 s[40:41], v31, v39                        // 00000000F968: D0CB0028 00024F1F
	v_add_u32_e32 v31, 64, v31                                 // 00000000F970: 683E3EC0
	s_nop 0                                                    // 00000000F974: BF800000
	v_cndmask_b32_e64 v148, v55, v148, s[40:41]                // 00000000F978: D1000094 00A32937
	v_cmp_le_u32_e64 s[40:41], v32, v39                        // 00000000F980: D0CB0028 00024F20
	v_add_u32_e32 v32, 64, v32                                 // 00000000F988: 684040C0
	s_nop 0                                                    // 00000000F98C: BF800000
	v_cndmask_b32_e64 v149, v55, v149, s[40:41]                // 00000000F990: D1000095 00A32B37
	v_cmp_le_u32_e64 s[40:41], v33, v39                        // 00000000F998: D0CB0028 00024F21
	v_add_u32_e32 v33, 64, v33                                 // 00000000F9A0: 684242C0
	s_nop 0                                                    // 00000000F9A4: BF800000
	v_cndmask_b32_e64 v150, v55, v150, s[40:41]                // 00000000F9A8: D1000096 00A32D37
	v_cmp_le_u32_e64 s[40:41], v34, v39                        // 00000000F9B0: D0CB0028 00024F22
	v_add_u32_e32 v34, 64, v34                                 // 00000000F9B8: 684444C0
	s_nop 0                                                    // 00000000F9BC: BF800000
	v_cndmask_b32_e64 v151, v55, v151, s[40:41]                // 00000000F9C0: D1000097 00A32F37
	v_cmp_le_u32_e64 s[40:41], v31, v39                        // 00000000F9C8: D0CB0028 00024F1F
	v_add_u32_e32 v31, 64, v31                                 // 00000000F9D0: 683E3EC0
	s_nop 0                                                    // 00000000F9D4: BF800000
	v_cndmask_b32_e64 v152, v55, v152, s[40:41]                // 00000000F9D8: D1000098 00A33137
	v_cmp_le_u32_e64 s[40:41], v32, v39                        // 00000000F9E0: D0CB0028 00024F20
	v_add_u32_e32 v32, 64, v32                                 // 00000000F9E8: 684040C0
	s_nop 0                                                    // 00000000F9EC: BF800000
	v_cndmask_b32_e64 v153, v55, v153, s[40:41]                // 00000000F9F0: D1000099 00A33337
	v_cmp_le_u32_e64 s[40:41], v33, v39                        // 00000000F9F8: D0CB0028 00024F21
	v_add_u32_e32 v33, 64, v33                                 // 00000000FA00: 684242C0
	s_nop 0                                                    // 00000000FA04: BF800000
	v_cndmask_b32_e64 v154, v55, v154, s[40:41]                // 00000000FA08: D100009A 00A33537
	v_cmp_le_u32_e64 s[40:41], v34, v39                        // 00000000FA10: D0CB0028 00024F22
	v_add_u32_e32 v34, 64, v34                                 // 00000000FA18: 684444C0
	s_nop 0                                                    // 00000000FA1C: BF800000
	v_cndmask_b32_e64 v155, v55, v155, s[40:41]                // 00000000FA20: D100009B 00A33737
	v_cmp_le_u32_e64 s[40:41], v31, v39                        // 00000000FA28: D0CB0028 00024F1F
	v_add_u32_e32 v31, 64, v31                                 // 00000000FA30: 683E3EC0
	s_nop 0                                                    // 00000000FA34: BF800000
	v_cndmask_b32_e64 v156, v55, v156, s[40:41]                // 00000000FA38: D100009C 00A33937
	v_cmp_le_u32_e64 s[40:41], v32, v39                        // 00000000FA40: D0CB0028 00024F20
	v_add_u32_e32 v32, 64, v32                                 // 00000000FA48: 684040C0
	s_nop 0                                                    // 00000000FA4C: BF800000
	v_cndmask_b32_e64 v157, v55, v157, s[40:41]                // 00000000FA50: D100009D 00A33B37
	v_cmp_le_u32_e64 s[40:41], v33, v39                        // 00000000FA58: D0CB0028 00024F21
	v_add_u32_e32 v33, 64, v33                                 // 00000000FA60: 684242C0
	s_nop 0                                                    // 00000000FA64: BF800000
	v_cndmask_b32_e64 v158, v55, v158, s[40:41]                // 00000000FA68: D100009E 00A33D37
	v_cmp_le_u32_e64 s[40:41], v34, v39                        // 00000000FA70: D0CB0028 00024F22
	v_add_u32_e32 v34, 64, v34                                 // 00000000FA78: 684444C0
	s_nop 0                                                    // 00000000FA7C: BF800000
	v_cndmask_b32_e64 v159, v55, v159, s[40:41]                // 00000000FA80: D100009F 00A33F37

000000000000fa88 <label_3623>:
	s_nop 8                                                    // 00000000FA88: BF800008
	s_and_b32 s60, s72, 0xff                                   // 00000000FA8C: 863CFF48 000000FF
	v_mov_b32_e32 v56, s60                                     // 00000000FA94: 7E70023C
	v_lshrrev_b32_e32 v31, 4, v0                               // 00000000FA98: 203E0084
	v_mul_i32_i24_e32 v31, 4, v31                              // 00000000FA9C: 0C3E3E84
	s_mul_i32 s60, s7, 16                                      // 00000000FAA0: 923C9007
	v_add_u32_e32 v31, s60, v31                                // 00000000FAA4: 683E3E3C
	v_add_u32_e32 v32, 1, v31                                  // 00000000FAA8: 68403E81
	v_add_u32_e32 v33, 2, v31                                  // 00000000FAAC: 68423E82
	v_add_u32_e32 v34, 3, v31                                  // 00000000FAB0: 68443E83
	v_mov_b32_e32 v39, v55                                     // 00000000FAB4: 7E4E0337
	v_cmp_lt_u32_e64 s[40:41], v31, v56                        // 00000000FAB8: D0C90028 0002711F
	v_add_u32_e32 v31, 64, v31                                 // 00000000FAC0: 683E3EC0
	s_nop 0                                                    // 00000000FAC4: BF800000
	v_cndmask_b32_e64 v112, v39, v112, s[40:41]                // 00000000FAC8: D1000070 00A2E127
	v_cmp_lt_u32_e64 s[40:41], v32, v56                        // 00000000FAD0: D0C90028 00027120
	v_add_u32_e32 v32, 64, v32                                 // 00000000FAD8: 684040C0
	s_nop 0                                                    // 00000000FADC: BF800000
	v_cndmask_b32_e64 v113, v39, v113, s[40:41]                // 00000000FAE0: D1000071 00A2E327
	v_cmp_lt_u32_e64 s[40:41], v33, v56                        // 00000000FAE8: D0C90028 00027121
	v_add_u32_e32 v33, 64, v33                                 // 00000000FAF0: 684242C0
	s_nop 0                                                    // 00000000FAF4: BF800000
	v_cndmask_b32_e64 v114, v39, v114, s[40:41]                // 00000000FAF8: D1000072 00A2E527
	v_cmp_lt_u32_e64 s[40:41], v34, v56                        // 00000000FB00: D0C90028 00027122
	v_add_u32_e32 v34, 64, v34                                 // 00000000FB08: 684444C0
	s_nop 0                                                    // 00000000FB0C: BF800000
	v_cndmask_b32_e64 v115, v39, v115, s[40:41]                // 00000000FB10: D1000073 00A2E727
	v_cmp_lt_u32_e64 s[40:41], v31, v56                        // 00000000FB18: D0C90028 0002711F
	v_add_u32_e32 v31, 64, v31                                 // 00000000FB20: 683E3EC0
	s_nop 0                                                    // 00000000FB24: BF800000
	v_cndmask_b32_e64 v116, v39, v116, s[40:41]                // 00000000FB28: D1000074 00A2E927
	v_cmp_lt_u32_e64 s[40:41], v32, v56                        // 00000000FB30: D0C90028 00027120
	v_add_u32_e32 v32, 64, v32                                 // 00000000FB38: 684040C0
	s_nop 0                                                    // 00000000FB3C: BF800000
	v_cndmask_b32_e64 v117, v39, v117, s[40:41]                // 00000000FB40: D1000075 00A2EB27
	v_cmp_lt_u32_e64 s[40:41], v33, v56                        // 00000000FB48: D0C90028 00027121
	v_add_u32_e32 v33, 64, v33                                 // 00000000FB50: 684242C0
	s_nop 0                                                    // 00000000FB54: BF800000
	v_cndmask_b32_e64 v118, v39, v118, s[40:41]                // 00000000FB58: D1000076 00A2ED27
	v_cmp_lt_u32_e64 s[40:41], v34, v56                        // 00000000FB60: D0C90028 00027122
	v_add_u32_e32 v34, 64, v34                                 // 00000000FB68: 684444C0
	s_nop 0                                                    // 00000000FB6C: BF800000
	v_cndmask_b32_e64 v119, v39, v119, s[40:41]                // 00000000FB70: D1000077 00A2EF27
	v_cmp_lt_u32_e64 s[40:41], v31, v56                        // 00000000FB78: D0C90028 0002711F
	v_add_u32_e32 v31, 64, v31                                 // 00000000FB80: 683E3EC0
	s_nop 0                                                    // 00000000FB84: BF800000
	v_cndmask_b32_e64 v120, v39, v120, s[40:41]                // 00000000FB88: D1000078 00A2F127
	v_cmp_lt_u32_e64 s[40:41], v32, v56                        // 00000000FB90: D0C90028 00027120
	v_add_u32_e32 v32, 64, v32                                 // 00000000FB98: 684040C0
	s_nop 0                                                    // 00000000FB9C: BF800000
	v_cndmask_b32_e64 v121, v39, v121, s[40:41]                // 00000000FBA0: D1000079 00A2F327
	v_cmp_lt_u32_e64 s[40:41], v33, v56                        // 00000000FBA8: D0C90028 00027121
	v_add_u32_e32 v33, 64, v33                                 // 00000000FBB0: 684242C0
	s_nop 0                                                    // 00000000FBB4: BF800000
	v_cndmask_b32_e64 v122, v39, v122, s[40:41]                // 00000000FBB8: D100007A 00A2F527
	v_cmp_lt_u32_e64 s[40:41], v34, v56                        // 00000000FBC0: D0C90028 00027122
	v_add_u32_e32 v34, 64, v34                                 // 00000000FBC8: 684444C0
	s_nop 0                                                    // 00000000FBCC: BF800000
	v_cndmask_b32_e64 v123, v39, v123, s[40:41]                // 00000000FBD0: D100007B 00A2F727
	v_cmp_lt_u32_e64 s[40:41], v31, v56                        // 00000000FBD8: D0C90028 0002711F
	v_add_u32_e32 v31, 64, v31                                 // 00000000FBE0: 683E3EC0
	s_nop 0                                                    // 00000000FBE4: BF800000
	v_cndmask_b32_e64 v124, v39, v124, s[40:41]                // 00000000FBE8: D100007C 00A2F927
	v_cmp_lt_u32_e64 s[40:41], v32, v56                        // 00000000FBF0: D0C90028 00027120
	v_add_u32_e32 v32, 64, v32                                 // 00000000FBF8: 684040C0
	s_nop 0                                                    // 00000000FBFC: BF800000
	v_cndmask_b32_e64 v125, v39, v125, s[40:41]                // 00000000FC00: D100007D 00A2FB27
	v_cmp_lt_u32_e64 s[40:41], v33, v56                        // 00000000FC08: D0C90028 00027121
	v_add_u32_e32 v33, 64, v33                                 // 00000000FC10: 684242C0
	s_nop 0                                                    // 00000000FC14: BF800000
	v_cndmask_b32_e64 v126, v39, v126, s[40:41]                // 00000000FC18: D100007E 00A2FD27
	v_cmp_lt_u32_e64 s[40:41], v34, v56                        // 00000000FC20: D0C90028 00027122
	v_add_u32_e32 v34, 64, v34                                 // 00000000FC28: 684444C0
	s_nop 0                                                    // 00000000FC2C: BF800000
	v_cndmask_b32_e64 v127, v39, v127, s[40:41]                // 00000000FC30: D100007F 00A2FF27
	s_and_b32 s60, s72, 0xff                                   // 00000000FC38: 863CFF48 000000FF
	v_mov_b32_e32 v56, s60                                     // 00000000FC40: 7E70023C
	v_lshrrev_b32_e32 v31, 4, v0                               // 00000000FC44: 203E0084
	v_mul_i32_i24_e32 v31, 4, v31                              // 00000000FC48: 0C3E3E84
	s_mul_i32 s60, s7, 16                                      // 00000000FC4C: 923C9007
	v_add_u32_e32 v31, s60, v31                                // 00000000FC50: 683E3E3C
	v_add_u32_e32 v32, 1, v31                                  // 00000000FC54: 68403E81
	v_add_u32_e32 v33, 2, v31                                  // 00000000FC58: 68423E82
	v_add_u32_e32 v34, 3, v31                                  // 00000000FC5C: 68443E83
	v_mov_b32_e32 v39, v55                                     // 00000000FC60: 7E4E0337
	v_cmp_lt_u32_e64 s[40:41], v31, v56                        // 00000000FC64: D0C90028 0002711F
	v_add_u32_e32 v31, 64, v31                                 // 00000000FC6C: 683E3EC0
	s_nop 0                                                    // 00000000FC70: BF800000
	v_cndmask_b32_e64 v144, v39, v144, s[40:41]                // 00000000FC74: D1000090 00A32127
	v_cmp_lt_u32_e64 s[40:41], v32, v56                        // 00000000FC7C: D0C90028 00027120
	v_add_u32_e32 v32, 64, v32                                 // 00000000FC84: 684040C0
	s_nop 0                                                    // 00000000FC88: BF800000
	v_cndmask_b32_e64 v145, v39, v145, s[40:41]                // 00000000FC8C: D1000091 00A32327
	v_cmp_lt_u32_e64 s[40:41], v33, v56                        // 00000000FC94: D0C90028 00027121
	v_add_u32_e32 v33, 64, v33                                 // 00000000FC9C: 684242C0
	s_nop 0                                                    // 00000000FCA0: BF800000
	v_cndmask_b32_e64 v146, v39, v146, s[40:41]                // 00000000FCA4: D1000092 00A32527
	v_cmp_lt_u32_e64 s[40:41], v34, v56                        // 00000000FCAC: D0C90028 00027122
	v_add_u32_e32 v34, 64, v34                                 // 00000000FCB4: 684444C0
	s_nop 0                                                    // 00000000FCB8: BF800000
	v_cndmask_b32_e64 v147, v39, v147, s[40:41]                // 00000000FCBC: D1000093 00A32727
	v_cmp_lt_u32_e64 s[40:41], v31, v56                        // 00000000FCC4: D0C90028 0002711F
	v_add_u32_e32 v31, 64, v31                                 // 00000000FCCC: 683E3EC0
	s_nop 0                                                    // 00000000FCD0: BF800000
	v_cndmask_b32_e64 v148, v39, v148, s[40:41]                // 00000000FCD4: D1000094 00A32927
	v_cmp_lt_u32_e64 s[40:41], v32, v56                        // 00000000FCDC: D0C90028 00027120
	v_add_u32_e32 v32, 64, v32                                 // 00000000FCE4: 684040C0
	s_nop 0                                                    // 00000000FCE8: BF800000
	v_cndmask_b32_e64 v149, v39, v149, s[40:41]                // 00000000FCEC: D1000095 00A32B27
	v_cmp_lt_u32_e64 s[40:41], v33, v56                        // 00000000FCF4: D0C90028 00027121
	v_add_u32_e32 v33, 64, v33                                 // 00000000FCFC: 684242C0
	s_nop 0                                                    // 00000000FD00: BF800000
	v_cndmask_b32_e64 v150, v39, v150, s[40:41]                // 00000000FD04: D1000096 00A32D27
	v_cmp_lt_u32_e64 s[40:41], v34, v56                        // 00000000FD0C: D0C90028 00027122
	v_add_u32_e32 v34, 64, v34                                 // 00000000FD14: 684444C0
	s_nop 0                                                    // 00000000FD18: BF800000
	v_cndmask_b32_e64 v151, v39, v151, s[40:41]                // 00000000FD1C: D1000097 00A32F27
	v_cmp_lt_u32_e64 s[40:41], v31, v56                        // 00000000FD24: D0C90028 0002711F
	v_add_u32_e32 v31, 64, v31                                 // 00000000FD2C: 683E3EC0
	s_nop 0                                                    // 00000000FD30: BF800000
	v_cndmask_b32_e64 v152, v39, v152, s[40:41]                // 00000000FD34: D1000098 00A33127
	v_cmp_lt_u32_e64 s[40:41], v32, v56                        // 00000000FD3C: D0C90028 00027120
	v_add_u32_e32 v32, 64, v32                                 // 00000000FD44: 684040C0
	s_nop 0                                                    // 00000000FD48: BF800000
	v_cndmask_b32_e64 v153, v39, v153, s[40:41]                // 00000000FD4C: D1000099 00A33327
	v_cmp_lt_u32_e64 s[40:41], v33, v56                        // 00000000FD54: D0C90028 00027121
	v_add_u32_e32 v33, 64, v33                                 // 00000000FD5C: 684242C0
	s_nop 0                                                    // 00000000FD60: BF800000
	v_cndmask_b32_e64 v154, v39, v154, s[40:41]                // 00000000FD64: D100009A 00A33527
	v_cmp_lt_u32_e64 s[40:41], v34, v56                        // 00000000FD6C: D0C90028 00027122
	v_add_u32_e32 v34, 64, v34                                 // 00000000FD74: 684444C0
	s_nop 0                                                    // 00000000FD78: BF800000
	v_cndmask_b32_e64 v155, v39, v155, s[40:41]                // 00000000FD7C: D100009B 00A33727
	v_cmp_lt_u32_e64 s[40:41], v31, v56                        // 00000000FD84: D0C90028 0002711F
	v_add_u32_e32 v31, 64, v31                                 // 00000000FD8C: 683E3EC0
	s_nop 0                                                    // 00000000FD90: BF800000
	v_cndmask_b32_e64 v156, v39, v156, s[40:41]                // 00000000FD94: D100009C 00A33927
	v_cmp_lt_u32_e64 s[40:41], v32, v56                        // 00000000FD9C: D0C90028 00027120
	v_add_u32_e32 v32, 64, v32                                 // 00000000FDA4: 684040C0
	s_nop 0                                                    // 00000000FDA8: BF800000
	v_cndmask_b32_e64 v157, v39, v157, s[40:41]                // 00000000FDAC: D100009D 00A33B27
	v_cmp_lt_u32_e64 s[40:41], v33, v56                        // 00000000FDB4: D0C90028 00027121
	v_add_u32_e32 v33, 64, v33                                 // 00000000FDBC: 684242C0
	s_nop 0                                                    // 00000000FDC0: BF800000
	v_cndmask_b32_e64 v158, v39, v158, s[40:41]                // 00000000FDC4: D100009E 00A33D27
	v_cmp_lt_u32_e64 s[40:41], v34, v56                        // 00000000FDCC: D0C90028 00027122
	v_add_u32_e32 v34, 64, v34                                 // 00000000FDD4: 684444C0
	s_nop 0                                                    // 00000000FDD8: BF800000
	v_cndmask_b32_e64 v159, v39, v159, s[40:41]                // 00000000FDDC: D100009F 00A33F27
	s_nop 8                                                    // 00000000FDE4: BF800008
	v_mov_b32_e32 v50, v112                                    // 00000000FDE8: 7E640370
	v_max3_f32 v50, v112, v113, v50                            // 00000000FDEC: D1D30032 04CAE370
	v_max3_f32 v50, v114, v115, v50                            // 00000000FDF4: D1D30032 04CAE772
	v_max3_f32 v50, v116, v117, v50                            // 00000000FDFC: D1D30032 04CAEB74
	v_max3_f32 v50, v118, v119, v50                            // 00000000FE04: D1D30032 04CAEF76
	v_max3_f32 v50, v120, v121, v50                            // 00000000FE0C: D1D30032 04CAF378
	v_max3_f32 v50, v122, v123, v50                            // 00000000FE14: D1D30032 04CAF77A
	v_max3_f32 v50, v124, v125, v50                            // 00000000FE1C: D1D30032 04CAFB7C
	v_max3_f32 v50, v126, v127, v50                            // 00000000FE24: D1D30032 04CAFF7E
	ds_write_b32 v11, v50                                      // 00000000FE2C: D81A0000 0000320B
	s_waitcnt lgkmcnt(0)                                       // 00000000FE34: BF8CC07F
	s_barrier                                                  // 00000000FE38: BF8A0000
	ds_read_b32 v64, v10                                       // 00000000FE3C: D86C0000 4000000A
	ds_read_b32 v65, v10 offset:64                             // 00000000FE44: D86C0040 4100000A
	ds_read_b32 v66, v10 offset:128                            // 00000000FE4C: D86C0080 4200000A
	ds_read_b32 v67, v10 offset:192                            // 00000000FE54: D86C00C0 4300000A
	ds_read_b32 v68, v10 offset:256                            // 00000000FE5C: D86C0100 4400000A
	ds_read_b32 v69, v10 offset:320                            // 00000000FE64: D86C0140 4500000A
	ds_read_b32 v70, v10 offset:384                            // 00000000FE6C: D86C0180 4600000A
	ds_read_b32 v71, v10 offset:448                            // 00000000FE74: D86C01C0 4700000A
	ds_read_b32 v72, v10 offset:512                            // 00000000FE7C: D86C0200 4800000A
	ds_read_b32 v73, v10 offset:576                            // 00000000FE84: D86C0240 4900000A
	ds_read_b32 v74, v10 offset:640                            // 00000000FE8C: D86C0280 4A00000A
	ds_read_b32 v75, v10 offset:704                            // 00000000FE94: D86C02C0 4B00000A
	ds_read_b32 v76, v10 offset:768                            // 00000000FE9C: D86C0300 4C00000A
	ds_read_b32 v77, v10 offset:832                            // 00000000FEA4: D86C0340 4D00000A
	ds_read_b32 v78, v10 offset:896                            // 00000000FEAC: D86C0380 4E00000A
	ds_read_b32 v79, v10 offset:960                            // 00000000FEB4: D86C03C0 4F00000A
	s_waitcnt lgkmcnt(0)                                       // 00000000FEBC: BF8CC07F
	v_max3_f32 v50, v64, v65, v50                              // 00000000FEC0: D1D30032 04CA8340
	v_max3_f32 v50, v66, v67, v50                              // 00000000FEC8: D1D30032 04CA8742
	v_max3_f32 v50, v68, v69, v50                              // 00000000FED0: D1D30032 04CA8B44
	v_max3_f32 v50, v70, v71, v50                              // 00000000FED8: D1D30032 04CA8F46
	v_max3_f32 v50, v72, v73, v50                              // 00000000FEE0: D1D30032 04CA9348
	v_max3_f32 v50, v74, v75, v50                              // 00000000FEE8: D1D30032 04CA974A
	v_max3_f32 v50, v76, v77, v50                              // 00000000FEF0: D1D30032 04CA9B4C
	v_max3_f32 v50, v78, v79, v50                              // 00000000FEF8: D1D30032 04CA9F4E
	v_cmp_eq_u32_e64 s[40:41], v55, v14                        // 00000000FF00: D0CA0028 00021D37
	s_nop 1                                                    // 00000000FF08: BF800001
	v_max_f32_e32 v16, v50, v14                                // 00000000FF0C: 16201D32
	v_sub_f32_e32 v51, v14, v16                                // 00000000FF10: 0466210E
	v_cndmask_b32_e64 v51, v51, 0, s[40:41]                    // 00000000FF14: D1000033 00A10133
	v_mov_b32_e32 v14, v16                                     // 00000000FF1C: 7E1C0310
	v_mul_f32_e32 v53, s64, v16                                // 00000000FF20: 0A6A2040
	v_mul_f32_e32 v51, s64, v51                                // 00000000FF24: 0A666640
	v_exp_f32_e32 v51, v51                                     // 00000000FF28: 7E664133
	v_fma_f32 v112, v112, s64, -v53                            // 00000000FF2C: D1CB0070 84D48170
	v_fma_f32 v113, v113, s64, -v53                            // 00000000FF34: D1CB0071 84D48171
	v_fma_f32 v114, v114, s64, -v53                            // 00000000FF3C: D1CB0072 84D48172
	v_fma_f32 v115, v115, s64, -v53                            // 00000000FF44: D1CB0073 84D48173
	v_fma_f32 v116, v116, s64, -v53                            // 00000000FF4C: D1CB0074 84D48174
	v_fma_f32 v117, v117, s64, -v53                            // 00000000FF54: D1CB0075 84D48175
	v_fma_f32 v118, v118, s64, -v53                            // 00000000FF5C: D1CB0076 84D48176
	v_fma_f32 v119, v119, s64, -v53                            // 00000000FF64: D1CB0077 84D48177
	v_fma_f32 v120, v120, s64, -v53                            // 00000000FF6C: D1CB0078 84D48178
	v_fma_f32 v121, v121, s64, -v53                            // 00000000FF74: D1CB0079 84D48179
	v_fma_f32 v122, v122, s64, -v53                            // 00000000FF7C: D1CB007A 84D4817A
	v_fma_f32 v123, v123, s64, -v53                            // 00000000FF84: D1CB007B 84D4817B
	v_fma_f32 v124, v124, s64, -v53                            // 00000000FF8C: D1CB007C 84D4817C
	v_fma_f32 v125, v125, s64, -v53                            // 00000000FF94: D1CB007D 84D4817D
	v_fma_f32 v126, v126, s64, -v53                            // 00000000FF9C: D1CB007E 84D4817E
	v_fma_f32 v127, v127, s64, -v53                            // 00000000FFA4: D1CB007F 84D4817F
	v_exp_f32_e32 v112, v112                                   // 00000000FFAC: 7EE04170
	v_exp_f32_e32 v113, v113                                   // 00000000FFB0: 7EE24171
	v_exp_f32_e32 v114, v114                                   // 00000000FFB4: 7EE44172
	v_exp_f32_e32 v115, v115                                   // 00000000FFB8: 7EE64173
	v_exp_f32_e32 v116, v116                                   // 00000000FFBC: 7EE84174
	v_exp_f32_e32 v117, v117                                   // 00000000FFC0: 7EEA4175
	v_exp_f32_e32 v118, v118                                   // 00000000FFC4: 7EEC4176
	v_exp_f32_e32 v119, v119                                   // 00000000FFC8: 7EEE4177
	v_exp_f32_e32 v120, v120                                   // 00000000FFCC: 7EF04178
	v_exp_f32_e32 v121, v121                                   // 00000000FFD0: 7EF24179
	v_exp_f32_e32 v122, v122                                   // 00000000FFD4: 7EF4417A
	v_exp_f32_e32 v123, v123                                   // 00000000FFD8: 7EF6417B
	v_exp_f32_e32 v124, v124                                   // 00000000FFDC: 7EF8417C
	v_exp_f32_e32 v125, v125                                   // 00000000FFE0: 7EFA417D
	v_exp_f32_e32 v126, v126                                   // 00000000FFE4: 7EFC417E
	v_exp_f32_e32 v127, v127                                   // 00000000FFE8: 7EFE417F
	v_mul_f32_e32 v43, v51, v43                                // 00000000FFEC: 0A565733
	v_mov_b32_e32 v45, v112                                    // 00000000FFF0: 7E5A0370
	v_add_f32_e32 v45, v113, v45                               // 00000000FFF4: 025A5B71
	v_add_f32_e32 v45, v114, v45                               // 00000000FFF8: 025A5B72
	v_add_f32_e32 v45, v115, v45                               // 00000000FFFC: 025A5B73
	v_add_f32_e32 v45, v116, v45                               // 000000010000: 025A5B74
	v_add_f32_e32 v45, v117, v45                               // 000000010004: 025A5B75
	v_add_f32_e32 v45, v118, v45                               // 000000010008: 025A5B76
	v_add_f32_e32 v45, v119, v45                               // 00000001000C: 025A5B77
	v_add_f32_e32 v45, v120, v45                               // 000000010010: 025A5B78
	v_add_f32_e32 v45, v121, v45                               // 000000010014: 025A5B79
	v_add_f32_e32 v45, v122, v45                               // 000000010018: 025A5B7A
	v_add_f32_e32 v45, v123, v45                               // 00000001001C: 025A5B7B
	v_add_f32_e32 v45, v124, v45                               // 000000010020: 025A5B7C
	v_add_f32_e32 v45, v125, v45                               // 000000010024: 025A5B7D
	v_add_f32_e32 v45, v126, v45                               // 000000010028: 025A5B7E
	v_add_f32_e32 v45, v127, v45                               // 00000001002C: 025A5B7F
	v_add_f32_e32 v43, v45, v43                                // 000000010030: 0256572D
	v_cvt_pkrtz_f16_f32 v39, v112, v113                        // 000000010034: D2960027 0002E370
	v_mov_b32_e32 v112, v39                                    // 00000001003C: 7EE00327
	v_cvt_pkrtz_f16_f32 v39, v114, v115                        // 000000010040: D2960027 0002E772
	v_mov_b32_e32 v113, v39                                    // 000000010048: 7EE20327
	v_cvt_pkrtz_f16_f32 v39, v116, v117                        // 00000001004C: D2960027 0002EB74
	v_mov_b32_e32 v114, v39                                    // 000000010054: 7EE40327
	v_cvt_pkrtz_f16_f32 v39, v118, v119                        // 000000010058: D2960027 0002EF76
	v_mov_b32_e32 v115, v39                                    // 000000010060: 7EE60327
	v_cvt_pkrtz_f16_f32 v39, v120, v121                        // 000000010064: D2960027 0002F378
	v_mov_b32_e32 v116, v39                                    // 00000001006C: 7EE80327
	v_cvt_pkrtz_f16_f32 v39, v122, v123                        // 000000010070: D2960027 0002F77A
	v_mov_b32_e32 v117, v39                                    // 000000010078: 7EEA0327
	v_cvt_pkrtz_f16_f32 v39, v124, v125                        // 00000001007C: D2960027 0002FB7C
	v_mov_b32_e32 v118, v39                                    // 000000010084: 7EEC0327
	v_cvt_pkrtz_f16_f32 v39, v126, v127                        // 000000010088: D2960027 0002FF7E
	v_mov_b32_e32 v119, v39                                    // 000000010090: 7EEE0327
	ds_write_b64 v13, v[112:113] offset:4096                   // 000000010094: D89A1000 0000700D
	ds_write_b64 v13, v[114:115] offset:6144                   // 00000001009C: D89A1800 0000720D
	ds_write_b64 v13, v[116:117] offset:8192                   // 0000000100A4: D89A2000 0000740D
	ds_write_b64 v13, v[118:119] offset:10240                  // 0000000100AC: D89A2800 0000760D
	s_waitcnt lgkmcnt(0)                                       // 0000000100B4: BF8CC07F
	s_barrier                                                  // 0000000100B8: BF8A0000
	ds_read_b64 v[112:113], v12 offset:4096                    // 0000000100BC: D8EC1000 7000000C
	ds_read_b64 v[114:115], v12 offset:4224                    // 0000000100C4: D8EC1080 7200000C
	ds_read_b64 v[116:117], v12 offset:5120                    // 0000000100CC: D8EC1400 7400000C
	ds_read_b64 v[118:119], v12 offset:5248                    // 0000000100D4: D8EC1480 7600000C
	ds_read_b64 v[120:121], v12 offset:6144                    // 0000000100DC: D8EC1800 7800000C
	ds_read_b64 v[122:123], v12 offset:6272                    // 0000000100E4: D8EC1880 7A00000C
	ds_read_b64 v[124:125], v12 offset:7168                    // 0000000100EC: D8EC1C00 7C00000C
	ds_read_b64 v[126:127], v12 offset:7296                    // 0000000100F4: D8EC1C80 7E00000C
	ds_read_b64 v[128:129], v12 offset:8192                    // 0000000100FC: D8EC2000 8000000C
	ds_read_b64 v[130:131], v12 offset:8320                    // 000000010104: D8EC2080 8200000C
	ds_read_b64 v[132:133], v12 offset:9216                    // 00000001010C: D8EC2400 8400000C
	ds_read_b64 v[134:135], v12 offset:9344                    // 000000010114: D8EC2480 8600000C
	ds_read_b64 v[136:137], v12 offset:10240                   // 00000001011C: D8EC2800 8800000C
	ds_read_b64 v[138:139], v12 offset:10368                   // 000000010124: D8EC2880 8A00000C
	ds_read_b64 v[140:141], v12 offset:11264                   // 00000001012C: D8EC2C00 8C00000C
	ds_read_b64 v[142:143], v12 offset:11392                   // 000000010134: D8EC2C80 8E00000C
	s_waitcnt lgkmcnt(0)                                       // 00000001013C: BF8CC07F
	s_nop 8                                                    // 000000010140: BF800008
	v_mov_b32_e32 v50, v144                                    // 000000010144: 7E640390
	v_max3_f32 v50, v144, v145, v50                            // 000000010148: D1D30032 04CB2390
	v_max3_f32 v50, v146, v147, v50                            // 000000010150: D1D30032 04CB2792
	v_max3_f32 v50, v148, v149, v50                            // 000000010158: D1D30032 04CB2B94
	v_max3_f32 v50, v150, v151, v50                            // 000000010160: D1D30032 04CB2F96
	v_max3_f32 v50, v152, v153, v50                            // 000000010168: D1D30032 04CB3398
	v_max3_f32 v50, v154, v155, v50                            // 000000010170: D1D30032 04CB379A
	v_max3_f32 v50, v156, v157, v50                            // 000000010178: D1D30032 04CB3B9C
	v_max3_f32 v50, v158, v159, v50                            // 000000010180: D1D30032 04CB3F9E
	ds_write_b32 v11, v50                                      // 000000010188: D81A0000 0000320B
	s_waitcnt lgkmcnt(0)                                       // 000000010190: BF8CC07F
	s_barrier                                                  // 000000010194: BF8A0000
	ds_read_b32 v64, v10                                       // 000000010198: D86C0000 4000000A
	ds_read_b32 v65, v10 offset:64                             // 0000000101A0: D86C0040 4100000A
	ds_read_b32 v66, v10 offset:128                            // 0000000101A8: D86C0080 4200000A
	ds_read_b32 v67, v10 offset:192                            // 0000000101B0: D86C00C0 4300000A
	ds_read_b32 v68, v10 offset:256                            // 0000000101B8: D86C0100 4400000A
	ds_read_b32 v69, v10 offset:320                            // 0000000101C0: D86C0140 4500000A
	ds_read_b32 v70, v10 offset:384                            // 0000000101C8: D86C0180 4600000A
	ds_read_b32 v71, v10 offset:448                            // 0000000101D0: D86C01C0 4700000A
	ds_read_b32 v72, v10 offset:512                            // 0000000101D8: D86C0200 4800000A
	ds_read_b32 v73, v10 offset:576                            // 0000000101E0: D86C0240 4900000A
	ds_read_b32 v74, v10 offset:640                            // 0000000101E8: D86C0280 4A00000A
	ds_read_b32 v75, v10 offset:704                            // 0000000101F0: D86C02C0 4B00000A
	ds_read_b32 v76, v10 offset:768                            // 0000000101F8: D86C0300 4C00000A
	ds_read_b32 v77, v10 offset:832                            // 000000010200: D86C0340 4D00000A
	ds_read_b32 v78, v10 offset:896                            // 000000010208: D86C0380 4E00000A
	ds_read_b32 v79, v10 offset:960                            // 000000010210: D86C03C0 4F00000A
	s_waitcnt lgkmcnt(0)                                       // 000000010218: BF8CC07F
	v_max3_f32 v50, v64, v65, v50                              // 00000001021C: D1D30032 04CA8340
	v_max3_f32 v50, v66, v67, v50                              // 000000010224: D1D30032 04CA8742
	v_max3_f32 v50, v68, v69, v50                              // 00000001022C: D1D30032 04CA8B44
	v_max3_f32 v50, v70, v71, v50                              // 000000010234: D1D30032 04CA8F46
	v_max3_f32 v50, v72, v73, v50                              // 00000001023C: D1D30032 04CA9348
	v_max3_f32 v50, v74, v75, v50                              // 000000010244: D1D30032 04CA974A
	v_max3_f32 v50, v76, v77, v50                              // 00000001024C: D1D30032 04CA9B4C
	v_max3_f32 v50, v78, v79, v50                              // 000000010254: D1D30032 04CA9F4E
	v_cmp_eq_u32_e64 s[40:41], v55, v15                        // 00000001025C: D0CA0028 00021F37
	s_nop 1                                                    // 000000010264: BF800001
	v_max_f32_e32 v16, v50, v15                                // 000000010268: 16201F32
	v_sub_f32_e32 v52, v15, v16                                // 00000001026C: 0468210F
	v_cndmask_b32_e64 v52, v52, 0, s[40:41]                    // 000000010270: D1000034 00A10134
	v_mov_b32_e32 v15, v16                                     // 000000010278: 7E1E0310
	v_mul_f32_e32 v53, s64, v16                                // 00000001027C: 0A6A2040
	v_mul_f32_e32 v52, s64, v52                                // 000000010280: 0A686840
	v_exp_f32_e32 v52, v52                                     // 000000010284: 7E684134
	v_fma_f32 v144, v144, s64, -v53                            // 000000010288: D1CB0090 84D48190
	v_fma_f32 v145, v145, s64, -v53                            // 000000010290: D1CB0091 84D48191
	v_fma_f32 v146, v146, s64, -v53                            // 000000010298: D1CB0092 84D48192
	v_fma_f32 v147, v147, s64, -v53                            // 0000000102A0: D1CB0093 84D48193
	v_fma_f32 v148, v148, s64, -v53                            // 0000000102A8: D1CB0094 84D48194
	v_fma_f32 v149, v149, s64, -v53                            // 0000000102B0: D1CB0095 84D48195
	v_fma_f32 v150, v150, s64, -v53                            // 0000000102B8: D1CB0096 84D48196
	v_fma_f32 v151, v151, s64, -v53                            // 0000000102C0: D1CB0097 84D48197
	v_fma_f32 v152, v152, s64, -v53                            // 0000000102C8: D1CB0098 84D48198
	v_fma_f32 v153, v153, s64, -v53                            // 0000000102D0: D1CB0099 84D48199
	v_fma_f32 v154, v154, s64, -v53                            // 0000000102D8: D1CB009A 84D4819A
	v_fma_f32 v155, v155, s64, -v53                            // 0000000102E0: D1CB009B 84D4819B
	v_fma_f32 v156, v156, s64, -v53                            // 0000000102E8: D1CB009C 84D4819C
	v_fma_f32 v157, v157, s64, -v53                            // 0000000102F0: D1CB009D 84D4819D
	v_fma_f32 v158, v158, s64, -v53                            // 0000000102F8: D1CB009E 84D4819E
	v_fma_f32 v159, v159, s64, -v53                            // 000000010300: D1CB009F 84D4819F
	v_exp_f32_e32 v144, v144                                   // 000000010308: 7F204190
	v_exp_f32_e32 v145, v145                                   // 00000001030C: 7F224191
	v_exp_f32_e32 v146, v146                                   // 000000010310: 7F244192
	v_exp_f32_e32 v147, v147                                   // 000000010314: 7F264193
	v_exp_f32_e32 v148, v148                                   // 000000010318: 7F284194
	v_exp_f32_e32 v149, v149                                   // 00000001031C: 7F2A4195
	v_exp_f32_e32 v150, v150                                   // 000000010320: 7F2C4196
	v_exp_f32_e32 v151, v151                                   // 000000010324: 7F2E4197
	v_exp_f32_e32 v152, v152                                   // 000000010328: 7F304198
	v_exp_f32_e32 v153, v153                                   // 00000001032C: 7F324199
	v_exp_f32_e32 v154, v154                                   // 000000010330: 7F34419A
	v_exp_f32_e32 v155, v155                                   // 000000010334: 7F36419B
	v_exp_f32_e32 v156, v156                                   // 000000010338: 7F38419C
	v_exp_f32_e32 v157, v157                                   // 00000001033C: 7F3A419D
	v_exp_f32_e32 v158, v158                                   // 000000010340: 7F3C419E
	v_exp_f32_e32 v159, v159                                   // 000000010344: 7F3E419F
	v_mul_f32_e32 v44, v52, v44                                // 000000010348: 0A585934
	v_mov_b32_e32 v45, v144                                    // 00000001034C: 7E5A0390
	v_add_f32_e32 v45, v145, v45                               // 000000010350: 025A5B91
	v_add_f32_e32 v45, v146, v45                               // 000000010354: 025A5B92
	v_add_f32_e32 v45, v147, v45                               // 000000010358: 025A5B93
	v_add_f32_e32 v45, v148, v45                               // 00000001035C: 025A5B94
	v_add_f32_e32 v45, v149, v45                               // 000000010360: 025A5B95
	v_add_f32_e32 v45, v150, v45                               // 000000010364: 025A5B96
	v_add_f32_e32 v45, v151, v45                               // 000000010368: 025A5B97
	v_add_f32_e32 v45, v152, v45                               // 00000001036C: 025A5B98
	v_add_f32_e32 v45, v153, v45                               // 000000010370: 025A5B99
	v_add_f32_e32 v45, v154, v45                               // 000000010374: 025A5B9A
	v_add_f32_e32 v45, v155, v45                               // 000000010378: 025A5B9B
	v_add_f32_e32 v45, v156, v45                               // 00000001037C: 025A5B9C
	v_add_f32_e32 v45, v157, v45                               // 000000010380: 025A5B9D
	v_add_f32_e32 v45, v158, v45                               // 000000010384: 025A5B9E
	v_add_f32_e32 v45, v159, v45                               // 000000010388: 025A5B9F
	v_add_f32_e32 v44, v45, v44                                // 00000001038C: 0258592D
	v_cvt_pkrtz_f16_f32 v39, v144, v145                        // 000000010390: D2960027 00032390
	v_mov_b32_e32 v144, v39                                    // 000000010398: 7F200327
	v_cvt_pkrtz_f16_f32 v39, v146, v147                        // 00000001039C: D2960027 00032792
	v_mov_b32_e32 v145, v39                                    // 0000000103A4: 7F220327
	v_cvt_pkrtz_f16_f32 v39, v148, v149                        // 0000000103A8: D2960027 00032B94
	v_mov_b32_e32 v146, v39                                    // 0000000103B0: 7F240327
	v_cvt_pkrtz_f16_f32 v39, v150, v151                        // 0000000103B4: D2960027 00032F96
	v_mov_b32_e32 v147, v39                                    // 0000000103BC: 7F260327
	v_cvt_pkrtz_f16_f32 v39, v152, v153                        // 0000000103C0: D2960027 00033398
	v_mov_b32_e32 v148, v39                                    // 0000000103C8: 7F280327
	v_cvt_pkrtz_f16_f32 v39, v154, v155                        // 0000000103CC: D2960027 0003379A
	v_mov_b32_e32 v149, v39                                    // 0000000103D4: 7F2A0327
	v_cvt_pkrtz_f16_f32 v39, v156, v157                        // 0000000103D8: D2960027 00033B9C
	v_mov_b32_e32 v150, v39                                    // 0000000103E0: 7F2C0327
	v_cvt_pkrtz_f16_f32 v39, v158, v159                        // 0000000103E4: D2960027 00033F9E
	v_mov_b32_e32 v151, v39                                    // 0000000103EC: 7F2E0327
	ds_write_b64 v13, v[144:145] offset:4096                   // 0000000103F0: D89A1000 0000900D
	ds_write_b64 v13, v[146:147] offset:6144                   // 0000000103F8: D89A1800 0000920D
	ds_write_b64 v13, v[148:149] offset:8192                   // 000000010400: D89A2000 0000940D
	ds_write_b64 v13, v[150:151] offset:10240                  // 000000010408: D89A2800 0000960D
	s_waitcnt lgkmcnt(0)                                       // 000000010410: BF8CC07F
	s_barrier                                                  // 000000010414: BF8A0000
	ds_read_b64 v[144:145], v12 offset:4096                    // 000000010418: D8EC1000 9000000C
	ds_read_b64 v[146:147], v12 offset:4224                    // 000000010420: D8EC1080 9200000C
	ds_read_b64 v[148:149], v12 offset:5120                    // 000000010428: D8EC1400 9400000C
	ds_read_b64 v[150:151], v12 offset:5248                    // 000000010430: D8EC1480 9600000C
	ds_read_b64 v[152:153], v12 offset:6144                    // 000000010438: D8EC1800 9800000C
	ds_read_b64 v[154:155], v12 offset:6272                    // 000000010440: D8EC1880 9A00000C
	ds_read_b64 v[156:157], v12 offset:7168                    // 000000010448: D8EC1C00 9C00000C
	ds_read_b64 v[158:159], v12 offset:7296                    // 000000010450: D8EC1C80 9E00000C
	ds_read_b64 v[160:161], v12 offset:8192                    // 000000010458: D8EC2000 A000000C
	ds_read_b64 v[162:163], v12 offset:8320                    // 000000010460: D8EC2080 A200000C
	ds_read_b64 v[164:165], v12 offset:9216                    // 000000010468: D8EC2400 A400000C
	ds_read_b64 v[166:167], v12 offset:9344                    // 000000010470: D8EC2480 A600000C
	ds_read_b64 v[168:169], v12 offset:10240                   // 000000010478: D8EC2800 A800000C
	ds_read_b64 v[170:171], v12 offset:10368                   // 000000010480: D8EC2880 AA00000C
	ds_read_b64 v[172:173], v12 offset:11264                   // 000000010488: D8EC2C00 AC00000C
	ds_read_b64 v[174:175], v12 offset:11392                   // 000000010490: D8EC2C80 AE00000C
	s_waitcnt lgkmcnt(0)                                       // 000000010498: BF8CC07F
	v_mul_f32_e32 v176, v51, v176                              // 00000001049C: 0B616133
	v_mul_f32_e32 v177, v51, v177                              // 0000000104A0: 0B636333
	v_mul_f32_e32 v178, v51, v178                              // 0000000104A4: 0B656533
	v_mul_f32_e32 v179, v51, v179                              // 0000000104A8: 0B676733
	v_mul_f32_e32 v180, v51, v180                              // 0000000104AC: 0B696933
	v_mul_f32_e32 v181, v51, v181                              // 0000000104B0: 0B6B6B33
	v_mul_f32_e32 v182, v51, v182                              // 0000000104B4: 0B6D6D33
	v_mul_f32_e32 v183, v51, v183                              // 0000000104B8: 0B6F6F33
	v_mul_f32_e32 v184, v52, v184                              // 0000000104BC: 0B717134
	v_mul_f32_e32 v185, v52, v185                              // 0000000104C0: 0B737334
	v_mul_f32_e32 v186, v52, v186                              // 0000000104C4: 0B757534
	v_mul_f32_e32 v187, v52, v187                              // 0000000104C8: 0B777734
	v_mul_f32_e32 v188, v52, v188                              // 0000000104CC: 0B797934
	v_mul_f32_e32 v189, v52, v189                              // 0000000104D0: 0B7B7B34
	v_mul_f32_e32 v190, v52, v190                              // 0000000104D4: 0B7D7D34
	v_mul_f32_e32 v191, v52, v191                              // 0000000104D8: 0B7F7F34
	s_waitcnt vmcnt(0)                                         // 0000000104DC: BF8C0F70
	s_barrier                                                  // 0000000104E0: BF8A0000
	v_mfma_f32_16x16x16_f16 v[176:179], a[192:193], v[112:113], v[176:179]// 0000000104E4: D3CD00B0 0EC2E1C0
	v_mfma_f32_16x16x16_f16 v[176:179], a[194:195], v[114:115], v[176:179]// 0000000104EC: D3CD00B0 0EC2E5C2
	v_mfma_f32_16x16x16_f16 v[176:179], a[196:197], v[116:117], v[176:179]// 0000000104F4: D3CD00B0 0EC2E9C4
	v_mfma_f32_16x16x16_f16 v[176:179], a[198:199], v[118:119], v[176:179]// 0000000104FC: D3CD00B0 0EC2EDC6
	v_mfma_f32_16x16x16_f16 v[176:179], a[200:201], v[120:121], v[176:179]// 000000010504: D3CD00B0 0EC2F1C8
	v_mfma_f32_16x16x16_f16 v[176:179], a[202:203], v[122:123], v[176:179]// 00000001050C: D3CD00B0 0EC2F5CA
	v_mfma_f32_16x16x16_f16 v[176:179], a[204:205], v[124:125], v[176:179]// 000000010514: D3CD00B0 0EC2F9CC
	v_mfma_f32_16x16x16_f16 v[176:179], a[206:207], v[126:127], v[176:179]// 00000001051C: D3CD00B0 0EC2FDCE
	v_mfma_f32_16x16x16_f16 v[176:179], a[208:209], v[128:129], v[176:179]// 000000010524: D3CD00B0 0EC301D0
	v_mfma_f32_16x16x16_f16 v[176:179], a[210:211], v[130:131], v[176:179]// 00000001052C: D3CD00B0 0EC305D2
	v_mfma_f32_16x16x16_f16 v[176:179], a[212:213], v[132:133], v[176:179]// 000000010534: D3CD00B0 0EC309D4
	v_mfma_f32_16x16x16_f16 v[176:179], a[214:215], v[134:135], v[176:179]// 00000001053C: D3CD00B0 0EC30DD6
	v_mfma_f32_16x16x16_f16 v[176:179], a[216:217], v[136:137], v[176:179]// 000000010544: D3CD00B0 0EC311D8
	v_mfma_f32_16x16x16_f16 v[176:179], a[218:219], v[138:139], v[176:179]// 00000001054C: D3CD00B0 0EC315DA
	v_mfma_f32_16x16x16_f16 v[176:179], a[220:221], v[140:141], v[176:179]// 000000010554: D3CD00B0 0EC319DC
	v_mfma_f32_16x16x16_f16 v[176:179], a[222:223], v[142:143], v[176:179]// 00000001055C: D3CD00B0 0EC31DDE
	v_mfma_f32_16x16x16_f16 v[180:183], a[224:225], v[112:113], v[180:183]// 000000010564: D3CD00B4 0ED2E1E0
	v_mfma_f32_16x16x16_f16 v[180:183], a[226:227], v[114:115], v[180:183]// 00000001056C: D3CD00B4 0ED2E5E2
	v_mfma_f32_16x16x16_f16 v[180:183], a[228:229], v[116:117], v[180:183]// 000000010574: D3CD00B4 0ED2E9E4
	v_mfma_f32_16x16x16_f16 v[180:183], a[230:231], v[118:119], v[180:183]// 00000001057C: D3CD00B4 0ED2EDE6
	v_mfma_f32_16x16x16_f16 v[180:183], a[232:233], v[120:121], v[180:183]// 000000010584: D3CD00B4 0ED2F1E8
	v_mfma_f32_16x16x16_f16 v[180:183], a[234:235], v[122:123], v[180:183]// 00000001058C: D3CD00B4 0ED2F5EA
	v_mfma_f32_16x16x16_f16 v[180:183], a[236:237], v[124:125], v[180:183]// 000000010594: D3CD00B4 0ED2F9EC
	v_mfma_f32_16x16x16_f16 v[180:183], a[238:239], v[126:127], v[180:183]// 00000001059C: D3CD00B4 0ED2FDEE
	v_mfma_f32_16x16x16_f16 v[180:183], a[240:241], v[128:129], v[180:183]// 0000000105A4: D3CD00B4 0ED301F0
	v_mfma_f32_16x16x16_f16 v[180:183], a[242:243], v[130:131], v[180:183]// 0000000105AC: D3CD00B4 0ED305F2
	v_mfma_f32_16x16x16_f16 v[180:183], a[244:245], v[132:133], v[180:183]// 0000000105B4: D3CD00B4 0ED309F4
	v_mfma_f32_16x16x16_f16 v[180:183], a[246:247], v[134:135], v[180:183]// 0000000105BC: D3CD00B4 0ED30DF6
	v_mfma_f32_16x16x16_f16 v[180:183], a[248:249], v[136:137], v[180:183]// 0000000105C4: D3CD00B4 0ED311F8
	v_mfma_f32_16x16x16_f16 v[180:183], a[250:251], v[138:139], v[180:183]// 0000000105CC: D3CD00B4 0ED315FA
	v_mfma_f32_16x16x16_f16 v[180:183], a[252:253], v[140:141], v[180:183]// 0000000105D4: D3CD00B4 0ED319FC
	v_mfma_f32_16x16x16_f16 v[180:183], a[254:255], v[142:143], v[180:183]// 0000000105DC: D3CD00B4 0ED31DFE
	v_mfma_f32_16x16x16_f16 v[184:187], a[192:193], v[144:145], v[184:187]// 0000000105E4: D3CD00B8 0EE321C0
	v_mfma_f32_16x16x16_f16 v[184:187], a[194:195], v[146:147], v[184:187]// 0000000105EC: D3CD00B8 0EE325C2
	v_mfma_f32_16x16x16_f16 v[184:187], a[196:197], v[148:149], v[184:187]// 0000000105F4: D3CD00B8 0EE329C4
	v_mfma_f32_16x16x16_f16 v[184:187], a[198:199], v[150:151], v[184:187]// 0000000105FC: D3CD00B8 0EE32DC6
	v_mfma_f32_16x16x16_f16 v[184:187], a[200:201], v[152:153], v[184:187]// 000000010604: D3CD00B8 0EE331C8
	v_mfma_f32_16x16x16_f16 v[184:187], a[202:203], v[154:155], v[184:187]// 00000001060C: D3CD00B8 0EE335CA
	v_mfma_f32_16x16x16_f16 v[184:187], a[204:205], v[156:157], v[184:187]// 000000010614: D3CD00B8 0EE339CC
	v_mfma_f32_16x16x16_f16 v[184:187], a[206:207], v[158:159], v[184:187]// 00000001061C: D3CD00B8 0EE33DCE
	v_mfma_f32_16x16x16_f16 v[184:187], a[208:209], v[160:161], v[184:187]// 000000010624: D3CD00B8 0EE341D0
	v_mfma_f32_16x16x16_f16 v[184:187], a[210:211], v[162:163], v[184:187]// 00000001062C: D3CD00B8 0EE345D2
	v_mfma_f32_16x16x16_f16 v[184:187], a[212:213], v[164:165], v[184:187]// 000000010634: D3CD00B8 0EE349D4
	v_mfma_f32_16x16x16_f16 v[184:187], a[214:215], v[166:167], v[184:187]// 00000001063C: D3CD00B8 0EE34DD6
	v_mfma_f32_16x16x16_f16 v[184:187], a[216:217], v[168:169], v[184:187]// 000000010644: D3CD00B8 0EE351D8
	v_mfma_f32_16x16x16_f16 v[184:187], a[218:219], v[170:171], v[184:187]// 00000001064C: D3CD00B8 0EE355DA
	v_mfma_f32_16x16x16_f16 v[184:187], a[220:221], v[172:173], v[184:187]// 000000010654: D3CD00B8 0EE359DC
	v_mfma_f32_16x16x16_f16 v[184:187], a[222:223], v[174:175], v[184:187]// 00000001065C: D3CD00B8 0EE35DDE
	v_mfma_f32_16x16x16_f16 v[188:191], a[224:225], v[144:145], v[188:191]// 000000010664: D3CD00BC 0EF321E0
	v_mfma_f32_16x16x16_f16 v[188:191], a[226:227], v[146:147], v[188:191]// 00000001066C: D3CD00BC 0EF325E2
	v_mfma_f32_16x16x16_f16 v[188:191], a[228:229], v[148:149], v[188:191]// 000000010674: D3CD00BC 0EF329E4
	v_mfma_f32_16x16x16_f16 v[188:191], a[230:231], v[150:151], v[188:191]// 00000001067C: D3CD00BC 0EF32DE6
	v_mfma_f32_16x16x16_f16 v[188:191], a[232:233], v[152:153], v[188:191]// 000000010684: D3CD00BC 0EF331E8
	v_mfma_f32_16x16x16_f16 v[188:191], a[234:235], v[154:155], v[188:191]// 00000001068C: D3CD00BC 0EF335EA
	v_mfma_f32_16x16x16_f16 v[188:191], a[236:237], v[156:157], v[188:191]// 000000010694: D3CD00BC 0EF339EC
	v_mfma_f32_16x16x16_f16 v[188:191], a[238:239], v[158:159], v[188:191]// 00000001069C: D3CD00BC 0EF33DEE
	v_mfma_f32_16x16x16_f16 v[188:191], a[240:241], v[160:161], v[188:191]// 0000000106A4: D3CD00BC 0EF341F0
	v_mfma_f32_16x16x16_f16 v[188:191], a[242:243], v[162:163], v[188:191]// 0000000106AC: D3CD00BC 0EF345F2
	v_mfma_f32_16x16x16_f16 v[188:191], a[244:245], v[164:165], v[188:191]// 0000000106B4: D3CD00BC 0EF349F4
	v_mfma_f32_16x16x16_f16 v[188:191], a[246:247], v[166:167], v[188:191]// 0000000106BC: D3CD00BC 0EF34DF6
	v_mfma_f32_16x16x16_f16 v[188:191], a[248:249], v[168:169], v[188:191]// 0000000106C4: D3CD00BC 0EF351F8
	v_mfma_f32_16x16x16_f16 v[188:191], a[250:251], v[170:171], v[188:191]// 0000000106CC: D3CD00BC 0EF355FA
	v_mfma_f32_16x16x16_f16 v[188:191], a[252:253], v[172:173], v[188:191]// 0000000106D4: D3CD00BC 0EF359FC
	v_mfma_f32_16x16x16_f16 v[188:191], a[254:255], v[174:175], v[188:191]// 0000000106DC: D3CD00BC 0EF35DFE
	s_nop 8                                                    // 0000000106E4: BF800008
	s_branch label_393C                                        // 0000000106E8: BF820000

00000000000106ec <label_393C>:
	s_mov_b32 s60, 0xa0                                        // 0000000106EC: BEBC00FF 000000A0
	s_cmp_eq_i32 s60, s88                                      // 0000000106F4: BF00583C
	s_cbranch_scc1 label_3A31                                  // 0000000106F8: BF8500F1
	ds_write_b32 v11, v43                                      // 0000000106FC: D81A0000 00002B0B
	s_waitcnt lgkmcnt(0)                                       // 000000010704: BF8CC07F
	s_barrier                                                  // 000000010708: BF8A0000
	ds_read_b32 v64, v10                                       // 00000001070C: D86C0000 4000000A
	ds_read_b32 v65, v10 offset:64                             // 000000010714: D86C0040 4100000A
	ds_read_b32 v66, v10 offset:128                            // 00000001071C: D86C0080 4200000A
	ds_read_b32 v67, v10 offset:192                            // 000000010724: D86C00C0 4300000A
	ds_read_b32 v68, v10 offset:256                            // 00000001072C: D86C0100 4400000A
	ds_read_b32 v69, v10 offset:320                            // 000000010734: D86C0140 4500000A
	ds_read_b32 v70, v10 offset:384                            // 00000001073C: D86C0180 4600000A
	ds_read_b32 v71, v10 offset:448                            // 000000010744: D86C01C0 4700000A
	ds_read_b32 v72, v10 offset:512                            // 00000001074C: D86C0200 4800000A
	ds_read_b32 v73, v10 offset:576                            // 000000010754: D86C0240 4900000A
	ds_read_b32 v74, v10 offset:640                            // 00000001075C: D86C0280 4A00000A
	ds_read_b32 v75, v10 offset:704                            // 000000010764: D86C02C0 4B00000A
	ds_read_b32 v76, v10 offset:768                            // 00000001076C: D86C0300 4C00000A
	ds_read_b32 v77, v10 offset:832                            // 000000010774: D86C0340 4D00000A
	ds_read_b32 v78, v10 offset:896                            // 00000001077C: D86C0380 4E00000A
	ds_read_b32 v79, v10 offset:960                            // 000000010784: D86C03C0 4F00000A
	s_waitcnt lgkmcnt(0)                                       // 00000001078C: BF8CC07F
	v_mov_b32_e32 v43, 0                                       // 000000010790: 7E560280
	v_add_f32_e32 v43, v64, v43                                // 000000010794: 02565740
	v_add_f32_e32 v43, v65, v43                                // 000000010798: 02565741
	v_add_f32_e32 v43, v66, v43                                // 00000001079C: 02565742
	v_add_f32_e32 v43, v67, v43                                // 0000000107A0: 02565743
	v_add_f32_e32 v43, v68, v43                                // 0000000107A4: 02565744
	v_add_f32_e32 v43, v69, v43                                // 0000000107A8: 02565745
	v_add_f32_e32 v43, v70, v43                                // 0000000107AC: 02565746
	v_add_f32_e32 v43, v71, v43                                // 0000000107B0: 02565747
	v_add_f32_e32 v43, v72, v43                                // 0000000107B4: 02565748
	v_add_f32_e32 v43, v73, v43                                // 0000000107B8: 02565749
	v_add_f32_e32 v43, v74, v43                                // 0000000107BC: 0256574A
	v_add_f32_e32 v43, v75, v43                                // 0000000107C0: 0256574B
	v_add_f32_e32 v43, v76, v43                                // 0000000107C4: 0256574C
	v_add_f32_e32 v43, v77, v43                                // 0000000107C8: 0256574D
	v_add_f32_e32 v43, v78, v43                                // 0000000107CC: 0256574E
	v_add_f32_e32 v43, v79, v43                                // 0000000107D0: 0256574F
	s_nop 1                                                    // 0000000107D4: BF800001
	v_rcp_f32_e32 v43, v43                                     // 0000000107D8: 7E56452B
	s_nop 1                                                    // 0000000107DC: BF800001
	v_mul_f32_e32 v176, v43, v176                              // 0000000107E0: 0B61612B
	v_mul_f32_e32 v177, v43, v177                              // 0000000107E4: 0B63632B
	v_mul_f32_e32 v178, v43, v178                              // 0000000107E8: 0B65652B
	v_mul_f32_e32 v179, v43, v179                              // 0000000107EC: 0B67672B
	v_mul_f32_e32 v180, v43, v180                              // 0000000107F0: 0B69692B
	v_mul_f32_e32 v181, v43, v181                              // 0000000107F4: 0B6B6B2B
	v_mul_f32_e32 v182, v43, v182                              // 0000000107F8: 0B6D6D2B
	v_mul_f32_e32 v183, v43, v183                              // 0000000107FC: 0B6F6F2B
	v_cvt_pkrtz_f16_f32 v39, v176, v177                        // 000000010800: D2960027 000363B0
	v_mov_b32_e32 v176, v39                                    // 000000010808: 7F600327
	v_cvt_pkrtz_f16_f32 v39, v178, v179                        // 00000001080C: D2960027 000367B2
	v_mov_b32_e32 v177, v39                                    // 000000010814: 7F620327
	v_cvt_pkrtz_f16_f32 v39, v180, v181                        // 000000010818: D2960027 00036BB4
	v_mov_b32_e32 v178, v39                                    // 000000010820: 7F640327
	v_cvt_pkrtz_f16_f32 v39, v182, v183                        // 000000010824: D2960027 00036FB6
	v_mov_b32_e32 v179, v39                                    // 00000001082C: 7F660327
	v_lshrrev_b32_e32 v39, 4, v0                               // 000000010830: 204E0084
	v_mul_i32_i24_e32 v5, 34, v39                              // 000000010834: 0C0A4EA2
	v_and_b32_e32 v39, 15, v0                                  // 000000010838: 264E008F
	v_mul_i32_i24_e32 v40, 2, v39                              // 00000001083C: 0C504E82
	v_add_u32_e32 v5, v40, v5                                  // 000000010840: 680A0B28
	s_mul_i32 s60, s7, 0x88                                    // 000000010844: 923CFF07 00000088
	v_add_u32_e32 v5, s60, v5                                  // 00000001084C: 680A0A3C
	v_lshlrev_b32_e32 v5, 2, v5                                // 000000010850: 240A0A82
	ds_write_b64 v5, v[176:177] offset:36864                   // 000000010854: D89A9000 0000B005
	ds_write_b64 v5, v[178:179] offset:39040                   // 00000001085C: D89A9880 0000B205
	v_lshrrev_b32_e32 v39, 1, v0                               // 000000010864: 204E0081
	v_mul_i32_i24_e32 v5, 34, v39                              // 000000010868: 0C0A4EA2
	v_and_b32_e32 v40, 1, v0                                   // 00000001086C: 26500081
	v_add_u32_e32 v5, v40, v5                                  // 000000010870: 680A0B28
	s_mul_i32 s60, s7, 2                                       // 000000010874: 923C8207
	v_add_u32_e32 v5, s60, v5                                  // 000000010878: 680A0A3C
	v_lshlrev_b32_e32 v5, 2, v5                                // 00000001087C: 240A0A82
	s_waitcnt lgkmcnt(0)                                       // 000000010880: BF8CC07F
	s_barrier                                                  // 000000010884: BF8A0000
	ds_read_b32 v176, v5 offset:36864                          // 000000010888: D86C9000 B0000005
	ds_read_b32 v177, v5 offset:36896                          // 000000010890: D86C9020 B1000005
	ds_read_b32 v178, v5 offset:36928                          // 000000010898: D86C9040 B2000005
	ds_read_b32 v179, v5 offset:36960                          // 0000000108A0: D86C9060 B3000005
	s_waitcnt lgkmcnt(0)                                       // 0000000108A8: BF8CC07F
	buffer_store_dword v176, v8, s[8:11], 0 offen              // 0000000108AC: E0701000 8002B008
	buffer_store_dword v177, v8, s[8:11], 0 offen offset:1024  // 0000000108B4: E0701400 8002B108
	s_add_u32 s8, s75, s8                                      // 0000000108BC: 8008084B
	s_addc_u32 s9, 0, s9                                       // 0000000108C0: 82090980
	buffer_store_dword v178, v8, s[8:11], 0 offen              // 0000000108C4: E0701000 8002B208
	buffer_store_dword v179, v8, s[8:11], 0 offen offset:1024  // 0000000108CC: E0701400 8002B308
	s_add_u32 s8, s75, s8                                      // 0000000108D4: 8008084B
	s_addc_u32 s9, 0, s9                                       // 0000000108D8: 82090980
	ds_write_b32 v11, v44                                      // 0000000108DC: D81A0000 00002C0B
	s_waitcnt lgkmcnt(0)                                       // 0000000108E4: BF8CC07F
	s_barrier                                                  // 0000000108E8: BF8A0000
	ds_read_b32 v64, v10                                       // 0000000108EC: D86C0000 4000000A
	ds_read_b32 v65, v10 offset:64                             // 0000000108F4: D86C0040 4100000A
	ds_read_b32 v66, v10 offset:128                            // 0000000108FC: D86C0080 4200000A
	ds_read_b32 v67, v10 offset:192                            // 000000010904: D86C00C0 4300000A
	ds_read_b32 v68, v10 offset:256                            // 00000001090C: D86C0100 4400000A
	ds_read_b32 v69, v10 offset:320                            // 000000010914: D86C0140 4500000A
	ds_read_b32 v70, v10 offset:384                            // 00000001091C: D86C0180 4600000A
	ds_read_b32 v71, v10 offset:448                            // 000000010924: D86C01C0 4700000A
	ds_read_b32 v72, v10 offset:512                            // 00000001092C: D86C0200 4800000A
	ds_read_b32 v73, v10 offset:576                            // 000000010934: D86C0240 4900000A
	ds_read_b32 v74, v10 offset:640                            // 00000001093C: D86C0280 4A00000A
	ds_read_b32 v75, v10 offset:704                            // 000000010944: D86C02C0 4B00000A
	ds_read_b32 v76, v10 offset:768                            // 00000001094C: D86C0300 4C00000A
	ds_read_b32 v77, v10 offset:832                            // 000000010954: D86C0340 4D00000A
	ds_read_b32 v78, v10 offset:896                            // 00000001095C: D86C0380 4E00000A
	ds_read_b32 v79, v10 offset:960                            // 000000010964: D86C03C0 4F00000A
	s_waitcnt lgkmcnt(0)                                       // 00000001096C: BF8CC07F
	v_mov_b32_e32 v44, 0                                       // 000000010970: 7E580280
	v_add_f32_e32 v44, v64, v44                                // 000000010974: 02585940
	v_add_f32_e32 v44, v65, v44                                // 000000010978: 02585941
	v_add_f32_e32 v44, v66, v44                                // 00000001097C: 02585942
	v_add_f32_e32 v44, v67, v44                                // 000000010980: 02585943
	v_add_f32_e32 v44, v68, v44                                // 000000010984: 02585944
	;; [unrolled: 1-line block ×3, first 2 shown]
	v_add_f32_e32 v44, v70, v44                                // 00000001098C: 02585946
	v_add_f32_e32 v44, v71, v44                                // 000000010990: 02585947
	v_add_f32_e32 v44, v72, v44                                // 000000010994: 02585948
	;; [unrolled: 1-line block ×3, first 2 shown]
	v_add_f32_e32 v44, v74, v44                                // 00000001099C: 0258594A
	v_add_f32_e32 v44, v75, v44                                // 0000000109A0: 0258594B
	v_add_f32_e32 v44, v76, v44                                // 0000000109A4: 0258594C
	v_add_f32_e32 v44, v77, v44                                // 0000000109A8: 0258594D
	v_add_f32_e32 v44, v78, v44                                // 0000000109AC: 0258594E
	v_add_f32_e32 v44, v79, v44                                // 0000000109B0: 0258594F
	s_nop 1                                                    // 0000000109B4: BF800001
	v_rcp_f32_e32 v44, v44                                     // 0000000109B8: 7E58452C
	s_nop 1                                                    // 0000000109BC: BF800001
	v_mul_f32_e32 v184, v44, v184                              // 0000000109C0: 0B71712C
	v_mul_f32_e32 v185, v44, v185                              // 0000000109C4: 0B73732C
	v_mul_f32_e32 v186, v44, v186                              // 0000000109C8: 0B75752C
	v_mul_f32_e32 v187, v44, v187                              // 0000000109CC: 0B77772C
	v_mul_f32_e32 v188, v44, v188                              // 0000000109D0: 0B79792C
	v_mul_f32_e32 v189, v44, v189                              // 0000000109D4: 0B7B7B2C
	v_mul_f32_e32 v190, v44, v190                              // 0000000109D8: 0B7D7D2C
	v_mul_f32_e32 v191, v44, v191                              // 0000000109DC: 0B7F7F2C
	v_cvt_pkrtz_f16_f32 v39, v184, v185                        // 0000000109E0: D2960027 000373B8
	v_mov_b32_e32 v184, v39                                    // 0000000109E8: 7F700327
	v_cvt_pkrtz_f16_f32 v39, v186, v187                        // 0000000109EC: D2960027 000377BA
	v_mov_b32_e32 v185, v39                                    // 0000000109F4: 7F720327
	v_cvt_pkrtz_f16_f32 v39, v188, v189                        // 0000000109F8: D2960027 00037BBC
	v_mov_b32_e32 v186, v39                                    // 000000010A00: 7F740327
	v_cvt_pkrtz_f16_f32 v39, v190, v191                        // 000000010A04: D2960027 00037FBE
	v_mov_b32_e32 v187, v39                                    // 000000010A0C: 7F760327
	v_lshrrev_b32_e32 v39, 4, v0                               // 000000010A10: 204E0084
	v_mul_i32_i24_e32 v5, 34, v39                              // 000000010A14: 0C0A4EA2
	v_and_b32_e32 v39, 15, v0                                  // 000000010A18: 264E008F
	v_mul_i32_i24_e32 v40, 2, v39                              // 000000010A1C: 0C504E82
	v_add_u32_e32 v5, v40, v5                                  // 000000010A20: 680A0B28
	s_mul_i32 s60, s7, 0x88                                    // 000000010A24: 923CFF07 00000088
	v_add_u32_e32 v5, s60, v5                                  // 000000010A2C: 680A0A3C
	v_lshlrev_b32_e32 v5, 2, v5                                // 000000010A30: 240A0A82
	ds_write_b64 v5, v[184:185] offset:36864                   // 000000010A34: D89A9000 0000B805
	ds_write_b64 v5, v[186:187] offset:39040                   // 000000010A3C: D89A9880 0000BA05
	v_lshrrev_b32_e32 v39, 1, v0                               // 000000010A44: 204E0081
	v_mul_i32_i24_e32 v5, 34, v39                              // 000000010A48: 0C0A4EA2
	v_and_b32_e32 v40, 1, v0                                   // 000000010A4C: 26500081
	v_add_u32_e32 v5, v40, v5                                  // 000000010A50: 680A0B28
	s_mul_i32 s60, s7, 2                                       // 000000010A54: 923C8207
	v_add_u32_e32 v5, s60, v5                                  // 000000010A58: 680A0A3C
	v_lshlrev_b32_e32 v5, 2, v5                                // 000000010A5C: 240A0A82
	s_waitcnt lgkmcnt(0)                                       // 000000010A60: BF8CC07F
	s_barrier                                                  // 000000010A64: BF8A0000
	ds_read_b32 v184, v5 offset:36864                          // 000000010A68: D86C9000 B8000005
	ds_read_b32 v185, v5 offset:36896                          // 000000010A70: D86C9020 B9000005
	ds_read_b32 v186, v5 offset:36928                          // 000000010A78: D86C9040 BA000005
	ds_read_b32 v187, v5 offset:36960                          // 000000010A80: D86C9060 BB000005
	s_waitcnt lgkmcnt(0)                                       // 000000010A88: BF8CC07F
	buffer_store_dword v184, v8, s[8:11], 0 offen              // 000000010A8C: E0701000 8002B808
	buffer_store_dword v185, v8, s[8:11], 0 offen offset:1024  // 000000010A94: E0701400 8002B908
	s_add_u32 s8, s75, s8                                      // 000000010A9C: 8008084B
	s_addc_u32 s9, 0, s9                                       // 000000010AA0: 82090980
	buffer_store_dword v186, v8, s[8:11], 0 offen              // 000000010AA4: E0701000 8002BA08
	buffer_store_dword v187, v8, s[8:11], 0 offen offset:1024  // 000000010AAC: E0701400 8002BB08
	s_add_u32 s8, s75, s8                                      // 000000010AB4: 8008084B
	s_addc_u32 s9, 0, s9                                       // 000000010AB8: 82090980
	s_branch label_3B1B                                        // 000000010ABC: BF8200EA

0000000000010ac0 <label_3A31>:
	ds_write_b32 v11, v43                                      // 000000010AC0: D81A0000 00002B0B
	s_waitcnt lgkmcnt(0)                                       // 000000010AC8: BF8CC07F
	s_barrier                                                  // 000000010ACC: BF8A0000
	ds_read_b32 v64, v10                                       // 000000010AD0: D86C0000 4000000A
	ds_read_b32 v65, v10 offset:64                             // 000000010AD8: D86C0040 4100000A
	ds_read_b32 v66, v10 offset:128                            // 000000010AE0: D86C0080 4200000A
	ds_read_b32 v67, v10 offset:192                            // 000000010AE8: D86C00C0 4300000A
	ds_read_b32 v68, v10 offset:256                            // 000000010AF0: D86C0100 4400000A
	ds_read_b32 v69, v10 offset:320                            // 000000010AF8: D86C0140 4500000A
	ds_read_b32 v70, v10 offset:384                            // 000000010B00: D86C0180 4600000A
	ds_read_b32 v71, v10 offset:448                            // 000000010B08: D86C01C0 4700000A
	ds_read_b32 v72, v10 offset:512                            // 000000010B10: D86C0200 4800000A
	ds_read_b32 v73, v10 offset:576                            // 000000010B18: D86C0240 4900000A
	ds_read_b32 v74, v10 offset:640                            // 000000010B20: D86C0280 4A00000A
	ds_read_b32 v75, v10 offset:704                            // 000000010B28: D86C02C0 4B00000A
	ds_read_b32 v76, v10 offset:768                            // 000000010B30: D86C0300 4C00000A
	ds_read_b32 v77, v10 offset:832                            // 000000010B38: D86C0340 4D00000A
	ds_read_b32 v78, v10 offset:896                            // 000000010B40: D86C0380 4E00000A
	ds_read_b32 v79, v10 offset:960                            // 000000010B48: D86C03C0 4F00000A
	s_waitcnt lgkmcnt(0)                                       // 000000010B50: BF8CC07F
	v_mov_b32_e32 v43, 0                                       // 000000010B54: 7E560280
	v_add_f32_e32 v43, v64, v43                                // 000000010B58: 02565740
	v_add_f32_e32 v43, v65, v43                                // 000000010B5C: 02565741
	v_add_f32_e32 v43, v66, v43                                // 000000010B60: 02565742
	v_add_f32_e32 v43, v67, v43                                // 000000010B64: 02565743
	v_add_f32_e32 v43, v68, v43                                // 000000010B68: 02565744
	v_add_f32_e32 v43, v69, v43                                // 000000010B6C: 02565745
	v_add_f32_e32 v43, v70, v43                                // 000000010B70: 02565746
	v_add_f32_e32 v43, v71, v43                                // 000000010B74: 02565747
	v_add_f32_e32 v43, v72, v43                                // 000000010B78: 02565748
	v_add_f32_e32 v43, v73, v43                                // 000000010B7C: 02565749
	v_add_f32_e32 v43, v74, v43                                // 000000010B80: 0256574A
	v_add_f32_e32 v43, v75, v43                                // 000000010B84: 0256574B
	v_add_f32_e32 v43, v76, v43                                // 000000010B88: 0256574C
	v_add_f32_e32 v43, v77, v43                                // 000000010B8C: 0256574D
	v_add_f32_e32 v43, v78, v43                                // 000000010B90: 0256574E
	v_add_f32_e32 v43, v79, v43                                // 000000010B94: 0256574F
	s_nop 1                                                    // 000000010B98: BF800001
	v_rcp_f32_e32 v43, v43                                     // 000000010B9C: 7E56452B
	s_nop 1                                                    // 000000010BA0: BF800001
	v_mul_f32_e32 v176, v43, v176                              // 000000010BA4: 0B61612B
	v_mul_f32_e32 v177, v43, v177                              // 000000010BA8: 0B63632B
	v_mul_f32_e32 v178, v43, v178                              // 000000010BAC: 0B65652B
	v_mul_f32_e32 v179, v43, v179                              // 000000010BB0: 0B67672B
	v_mul_f32_e32 v180, v43, v180                              // 000000010BB4: 0B69692B
	v_mul_f32_e32 v181, v43, v181                              // 000000010BB8: 0B6B6B2B
	v_mul_f32_e32 v182, v43, v182                              // 000000010BBC: 0B6D6D2B
	v_mul_f32_e32 v183, v43, v183                              // 000000010BC0: 0B6F6F2B
	v_cvt_pkrtz_f16_f32 v39, v176, v177                        // 000000010BC4: D2960027 000363B0
	v_mov_b32_e32 v176, v39                                    // 000000010BCC: 7F600327
	v_cvt_pkrtz_f16_f32 v39, v178, v179                        // 000000010BD0: D2960027 000367B2
	v_mov_b32_e32 v177, v39                                    // 000000010BD8: 7F620327
	v_cvt_pkrtz_f16_f32 v39, v180, v181                        // 000000010BDC: D2960027 00036BB4
	v_mov_b32_e32 v178, v39                                    // 000000010BE4: 7F640327
	v_cvt_pkrtz_f16_f32 v39, v182, v183                        // 000000010BE8: D2960027 00036FB6
	v_mov_b32_e32 v179, v39                                    // 000000010BF0: 7F660327
	v_lshrrev_b32_e32 v39, 4, v0                               // 000000010BF4: 204E0084
	v_mul_i32_i24_e32 v5, 34, v39                              // 000000010BF8: 0C0A4EA2
	v_and_b32_e32 v39, 15, v0                                  // 000000010BFC: 264E008F
	v_mul_i32_i24_e32 v40, 2, v39                              // 000000010C00: 0C504E82
	v_add_u32_e32 v5, v40, v5                                  // 000000010C04: 680A0B28
	s_mul_i32 s60, s7, 0x88                                    // 000000010C08: 923CFF07 00000088
	v_add_u32_e32 v5, s60, v5                                  // 000000010C10: 680A0A3C
	v_lshlrev_b32_e32 v5, 2, v5                                // 000000010C14: 240A0A82
	ds_write_b64 v5, v[176:177] offset:36864                   // 000000010C18: D89A9000 0000B005
	ds_write_b64 v5, v[178:179] offset:39040                   // 000000010C20: D89A9880 0000B205
	v_lshrrev_b32_e32 v39, 1, v0                               // 000000010C28: 204E0081
	v_mul_i32_i24_e32 v5, 34, v39                              // 000000010C2C: 0C0A4EA2
	v_and_b32_e32 v40, 1, v0                                   // 000000010C30: 26500081
	v_add_u32_e32 v5, v40, v5                                  // 000000010C34: 680A0B28
	s_mul_i32 s60, s7, 2                                       // 000000010C38: 923C8207
	v_add_u32_e32 v5, s60, v5                                  // 000000010C3C: 680A0A3C
	v_lshlrev_b32_e32 v5, 2, v5                                // 000000010C40: 240A0A82
	s_waitcnt lgkmcnt(0)                                       // 000000010C44: BF8CC07F
	s_barrier                                                  // 000000010C48: BF8A0000
	ds_read_b32 v176, v5 offset:36864                          // 000000010C4C: D86C9000 B0000005
	ds_read_b32 v177, v5 offset:36896                          // 000000010C54: D86C9020 B1000005
	ds_read_b32 v178, v5 offset:36928                          // 000000010C5C: D86C9040 B2000005
	ds_read_b32 v179, v5 offset:36960                          // 000000010C64: D86C9060 B3000005
	s_waitcnt lgkmcnt(0)                                       // 000000010C6C: BF8CC07F
	buffer_store_dword v176, v8, s[8:11], 0 offen              // 000000010C70: E0701000 8002B008
	buffer_store_dword v177, v8, s[8:11], 0 offen offset:1024  // 000000010C78: E0701400 8002B108
	s_add_u32 s8, s75, s8                                      // 000000010C80: 8008084B
	s_addc_u32 s9, 0, s9                                       // 000000010C84: 82090980
	buffer_store_dword v178, v8, s[8:11], 0 offen              // 000000010C88: E0701000 8002B208
	buffer_store_dword v179, v8, s[8:11], 0 offen offset:1024  // 000000010C90: E0701400 8002B308
	s_add_u32 s8, s75, s8                                      // 000000010C98: 8008084B
	s_addc_u32 s9, 0, s9                                       // 000000010C9C: 82090980
	ds_write_b32 v11, v44                                      // 000000010CA0: D81A0000 00002C0B
	s_waitcnt lgkmcnt(0)                                       // 000000010CA8: BF8CC07F
	s_barrier                                                  // 000000010CAC: BF8A0000
	ds_read_b32 v64, v10                                       // 000000010CB0: D86C0000 4000000A
	ds_read_b32 v65, v10 offset:64                             // 000000010CB8: D86C0040 4100000A
	ds_read_b32 v66, v10 offset:128                            // 000000010CC0: D86C0080 4200000A
	ds_read_b32 v67, v10 offset:192                            // 000000010CC8: D86C00C0 4300000A
	ds_read_b32 v68, v10 offset:256                            // 000000010CD0: D86C0100 4400000A
	ds_read_b32 v69, v10 offset:320                            // 000000010CD8: D86C0140 4500000A
	ds_read_b32 v70, v10 offset:384                            // 000000010CE0: D86C0180 4600000A
	ds_read_b32 v71, v10 offset:448                            // 000000010CE8: D86C01C0 4700000A
	ds_read_b32 v72, v10 offset:512                            // 000000010CF0: D86C0200 4800000A
	ds_read_b32 v73, v10 offset:576                            // 000000010CF8: D86C0240 4900000A
	ds_read_b32 v74, v10 offset:640                            // 000000010D00: D86C0280 4A00000A
	ds_read_b32 v75, v10 offset:704                            // 000000010D08: D86C02C0 4B00000A
	ds_read_b32 v76, v10 offset:768                            // 000000010D10: D86C0300 4C00000A
	ds_read_b32 v77, v10 offset:832                            // 000000010D18: D86C0340 4D00000A
	ds_read_b32 v78, v10 offset:896                            // 000000010D20: D86C0380 4E00000A
	ds_read_b32 v79, v10 offset:960                            // 000000010D28: D86C03C0 4F00000A
	s_waitcnt lgkmcnt(0)                                       // 000000010D30: BF8CC07F
	v_mov_b32_e32 v44, 0                                       // 000000010D34: 7E580280
	v_add_f32_e32 v44, v64, v44                                // 000000010D38: 02585940
	v_add_f32_e32 v44, v65, v44                                // 000000010D3C: 02585941
	v_add_f32_e32 v44, v66, v44                                // 000000010D40: 02585942
	v_add_f32_e32 v44, v67, v44                                // 000000010D44: 02585943
	v_add_f32_e32 v44, v68, v44                                // 000000010D48: 02585944
	v_add_f32_e32 v44, v69, v44                                // 000000010D4C: 02585945
	v_add_f32_e32 v44, v70, v44                                // 000000010D50: 02585946
	v_add_f32_e32 v44, v71, v44                                // 000000010D54: 02585947
	v_add_f32_e32 v44, v72, v44                                // 000000010D58: 02585948
	v_add_f32_e32 v44, v73, v44                                // 000000010D5C: 02585949
	v_add_f32_e32 v44, v74, v44                                // 000000010D60: 0258594A
	v_add_f32_e32 v44, v75, v44                                // 000000010D64: 0258594B
	v_add_f32_e32 v44, v76, v44                                // 000000010D68: 0258594C
	v_add_f32_e32 v44, v77, v44                                // 000000010D6C: 0258594D
	v_add_f32_e32 v44, v78, v44                                // 000000010D70: 0258594E
	v_add_f32_e32 v44, v79, v44                                // 000000010D74: 0258594F
	s_nop 1                                                    // 000000010D78: BF800001
	v_rcp_f32_e32 v44, v44                                     // 000000010D7C: 7E58452C
	s_nop 1                                                    // 000000010D80: BF800001
	v_mul_f32_e32 v184, v44, v184                              // 000000010D84: 0B71712C
	v_mul_f32_e32 v185, v44, v185                              // 000000010D88: 0B73732C
	v_mul_f32_e32 v186, v44, v186                              // 000000010D8C: 0B75752C
	v_mul_f32_e32 v187, v44, v187                              // 000000010D90: 0B77772C
	v_mul_f32_e32 v188, v44, v188                              // 000000010D94: 0B79792C
	v_mul_f32_e32 v189, v44, v189                              // 000000010D98: 0B7B7B2C
	v_mul_f32_e32 v190, v44, v190                              // 000000010D9C: 0B7D7D2C
	v_mul_f32_e32 v191, v44, v191                              // 000000010DA0: 0B7F7F2C
	v_cvt_pkrtz_f16_f32 v39, v184, v185                        // 000000010DA4: D2960027 000373B8
	v_mov_b32_e32 v184, v39                                    // 000000010DAC: 7F700327
	v_cvt_pkrtz_f16_f32 v39, v186, v187                        // 000000010DB0: D2960027 000377BA
	v_mov_b32_e32 v185, v39                                    // 000000010DB8: 7F720327
	v_cvt_pkrtz_f16_f32 v39, v188, v189                        // 000000010DBC: D2960027 00037BBC
	v_mov_b32_e32 v186, v39                                    // 000000010DC4: 7F740327
	v_cvt_pkrtz_f16_f32 v39, v190, v191                        // 000000010DC8: D2960027 00037FBE
	v_mov_b32_e32 v187, v39                                    // 000000010DD0: 7F760327
	v_lshrrev_b32_e32 v39, 4, v0                               // 000000010DD4: 204E0084
	v_mul_i32_i24_e32 v5, 34, v39                              // 000000010DD8: 0C0A4EA2
	v_and_b32_e32 v39, 15, v0                                  // 000000010DDC: 264E008F
	v_mul_i32_i24_e32 v40, 2, v39                              // 000000010DE0: 0C504E82
	v_add_u32_e32 v5, v40, v5                                  // 000000010DE4: 680A0B28
	s_mul_i32 s60, s7, 0x88                                    // 000000010DE8: 923CFF07 00000088
	v_add_u32_e32 v5, s60, v5                                  // 000000010DF0: 680A0A3C
	v_lshlrev_b32_e32 v5, 2, v5                                // 000000010DF4: 240A0A82
	ds_write_b64 v5, v[184:185] offset:36864                   // 000000010DF8: D89A9000 0000B805
	ds_write_b64 v5, v[186:187] offset:39040                   // 000000010E00: D89A9880 0000BA05
	v_lshrrev_b32_e32 v39, 1, v0                               // 000000010E08: 204E0081
	v_mul_i32_i24_e32 v5, 34, v39                              // 000000010E0C: 0C0A4EA2
	v_and_b32_e32 v40, 1, v0                                   // 000000010E10: 26500081
	v_add_u32_e32 v5, v40, v5                                  // 000000010E14: 680A0B28
	s_mul_i32 s60, s7, 2                                       // 000000010E18: 923C8207
	v_add_u32_e32 v5, s60, v5                                  // 000000010E1C: 680A0A3C
	v_lshlrev_b32_e32 v5, 2, v5                                // 000000010E20: 240A0A82
	s_waitcnt lgkmcnt(0)                                       // 000000010E24: BF8CC07F
	s_barrier                                                  // 000000010E28: BF8A0000
	ds_read_b32 v184, v5 offset:36864                          // 000000010E2C: D86C9000 B8000005
	ds_read_b32 v185, v5 offset:36896                          // 000000010E34: D86C9020 B9000005
	ds_read_b32 v186, v5 offset:36928                          // 000000010E3C: D86C9040 BA000005
	ds_read_b32 v187, v5 offset:36960                          // 000000010E44: D86C9060 BB000005
	s_waitcnt lgkmcnt(0)                                       // 000000010E4C: BF8CC07F
	buffer_store_dword v184, v8, s[8:11], 0 offen              // 000000010E50: E0701000 8002B808
	buffer_store_dword v185, v8, s[8:11], 0 offen offset:1024  // 000000010E58: E0701400 8002B908
	s_add_u32 s8, s75, s8                                      // 000000010E60: 8008084B
	s_addc_u32 s9, 0, s9                                       // 000000010E64: 82090980

0000000000010e68 <label_3B1B>:
	s_waitcnt vmcnt(0) expcnt(0) lgkmcnt(0)                    // 000000010E68: BF8C0000
	s_endpgm                                                   // 000000010E6C: BF810000
